;; amdgpu-corpus repo=ROCm/rocFFT kind=compiled arch=gfx1201 opt=O3
	.text
	.amdgcn_target "amdgcn-amd-amdhsa--gfx1201"
	.amdhsa_code_object_version 6
	.protected	bluestein_single_fwd_len1144_dim1_dp_op_CI_CI ; -- Begin function bluestein_single_fwd_len1144_dim1_dp_op_CI_CI
	.globl	bluestein_single_fwd_len1144_dim1_dp_op_CI_CI
	.p2align	8
	.type	bluestein_single_fwd_len1144_dim1_dp_op_CI_CI,@function
bluestein_single_fwd_len1144_dim1_dp_op_CI_CI: ; @bluestein_single_fwd_len1144_dim1_dp_op_CI_CI
; %bb.0:
	s_load_b128 s[8:11], s[0:1], 0x28
	v_mul_u32_u24_e32 v1, 0x277, v0
	s_mov_b32 s2, exec_lo
	v_mov_b32_e32 v4, 0
	s_delay_alu instid0(VALU_DEP_2) | instskip(NEXT) | instid1(VALU_DEP_1)
	v_lshrrev_b32_e32 v1, 16, v1
	v_add_nc_u32_e32 v3, ttmp9, v1
	s_delay_alu instid0(VALU_DEP_1)
	v_mov_b32_e32 v2, v3
	scratch_store_b64 off, v[2:3], off offset:4 ; 8-byte Folded Spill
	s_wait_kmcnt 0x0
	v_cmpx_gt_u64_e64 s[8:9], v[3:4]
	s_cbranch_execz .LBB0_23
; %bb.1:
	s_clause 0x1
	s_load_b64 s[8:9], s[0:1], 0x0
	s_load_b64 s[12:13], s[0:1], 0x38
	v_mul_lo_u16 v1, 0x68, v1
	s_delay_alu instid0(VALU_DEP_1) | instskip(NEXT) | instid1(VALU_DEP_1)
	v_sub_nc_u16 v0, v0, v1
	v_and_b32_e32 v1, 0xffff, v0
	v_cmp_gt_u16_e32 vcc_lo, 0x58, v0
	s_delay_alu instid0(VALU_DEP_2)
	v_lshlrev_b32_e32 v255, 4, v1
	scratch_store_b32 off, v1, off          ; 4-byte Folded Spill
	s_and_saveexec_b32 s3, vcc_lo
	s_cbranch_execz .LBB0_3
; %bb.2:
	s_clause 0x1
	scratch_load_b64 v[0:1], off, off offset:4
	scratch_load_b32 v5, off, off
	s_load_b64 s[4:5], s[0:1], 0x18
	s_wait_kmcnt 0x0
	s_load_b128 s[4:7], s[4:5], 0x0
	s_wait_loadcnt 0x0
	s_wait_kmcnt 0x0
	v_mad_co_u64_u32 v[16:17], null, s4, v5, 0
	s_delay_alu instid0(VALU_DEP_1) | instskip(NEXT) | instid1(VALU_DEP_1)
	v_dual_mov_b32 v3, v0 :: v_dual_mov_b32 v2, v17
	v_mad_co_u64_u32 v[0:1], null, s6, v3, 0
	s_delay_alu instid0(VALU_DEP_1) | instskip(NEXT) | instid1(VALU_DEP_1)
	v_mad_co_u64_u32 v[3:4], null, s7, v3, v[1:2]
	v_mad_co_u64_u32 v[4:5], null, s5, v5, v[2:3]
	v_mov_b32_e32 v1, v3
	s_mul_u64 s[4:5], s[4:5], 0x580
	s_delay_alu instid0(VALU_DEP_1) | instskip(NEXT) | instid1(VALU_DEP_3)
	v_lshlrev_b64_e32 v[18:19], 4, v[0:1]
	v_mov_b32_e32 v17, v4
	s_clause 0x3
	global_load_b128 v[0:3], v255, s[8:9]
	global_load_b128 v[4:7], v255, s[8:9] offset:1408
	global_load_b128 v[8:11], v255, s[8:9] offset:2816
	;; [unrolled: 1-line block ×3, first 2 shown]
	v_add_co_u32 v26, s2, s10, v18
	v_lshlrev_b64_e32 v[24:25], 4, v[16:17]
	v_add_co_ci_u32_e64 v27, s2, s11, v19, s2
	s_clause 0x1
	global_load_b128 v[16:19], v255, s[8:9] offset:5632
	global_load_b128 v[20:23], v255, s[8:9] offset:7040
	v_add_co_u32 v40, s2, v26, v24
	s_wait_alu 0xf1ff
	v_add_co_ci_u32_e64 v41, s2, v27, v25, s2
	s_clause 0x1
	global_load_b128 v[24:27], v255, s[8:9] offset:8448
	global_load_b128 v[28:31], v255, s[8:9] offset:9856
	s_wait_alu 0xfffe
	v_add_co_u32 v44, s2, v40, s4
	s_wait_alu 0xf1ff
	v_add_co_ci_u32_e64 v45, s2, s5, v41, s2
	s_clause 0x1
	global_load_b128 v[32:35], v255, s[8:9] offset:11264
	global_load_b128 v[36:39], v255, s[8:9] offset:12672
	v_add_co_u32 v48, s2, v44, s4
	s_wait_alu 0xf1ff
	v_add_co_ci_u32_e64 v49, s2, s5, v45, s2
	s_clause 0x1
	global_load_b128 v[40:43], v[40:41], off
	global_load_b128 v[44:47], v[44:45], off
	v_add_co_u32 v52, s2, v48, s4
	s_wait_alu 0xf1ff
	v_add_co_ci_u32_e64 v53, s2, s5, v49, s2
	s_delay_alu instid0(VALU_DEP_2) | instskip(SKIP_1) | instid1(VALU_DEP_2)
	v_add_co_u32 v56, s2, v52, s4
	s_wait_alu 0xf1ff
	v_add_co_ci_u32_e64 v57, s2, s5, v53, s2
	s_clause 0x1
	global_load_b128 v[48:51], v[48:49], off
	global_load_b128 v[52:55], v[52:53], off
	v_add_co_u32 v60, s2, v56, s4
	s_wait_alu 0xf1ff
	v_add_co_ci_u32_e64 v61, s2, s5, v57, s2
	global_load_b128 v[56:59], v[56:57], off
	v_add_co_u32 v64, s2, v60, s4
	s_wait_alu 0xf1ff
	v_add_co_ci_u32_e64 v65, s2, s5, v61, s2
	global_load_b128 v[60:63], v[60:61], off
	v_add_co_u32 v68, s2, v64, s4
	s_wait_alu 0xf1ff
	v_add_co_ci_u32_e64 v69, s2, s5, v65, s2
	global_load_b128 v[64:67], v[64:65], off
	v_add_co_u32 v72, s2, v68, s4
	s_wait_alu 0xf1ff
	v_add_co_ci_u32_e64 v73, s2, s5, v69, s2
	global_load_b128 v[68:71], v[68:69], off
	v_add_co_u32 v76, s2, v72, s4
	s_wait_alu 0xf1ff
	v_add_co_ci_u32_e64 v77, s2, s5, v73, s2
	global_load_b128 v[72:75], v[72:73], off
	v_add_co_u32 v80, s2, v76, s4
	s_wait_alu 0xf1ff
	v_add_co_ci_u32_e64 v81, s2, s5, v77, s2
	global_load_b128 v[76:79], v[76:77], off
	v_add_co_u32 v92, s2, v80, s4
	s_wait_alu 0xf1ff
	v_add_co_ci_u32_e64 v93, s2, s5, v81, s2
	global_load_b128 v[80:83], v[80:81], off
	v_add_co_u32 v100, s2, v92, s4
	s_wait_alu 0xf1ff
	v_add_co_ci_u32_e64 v101, s2, s5, v93, s2
	s_clause 0x1
	global_load_b128 v[84:87], v255, s[8:9] offset:14080
	global_load_b128 v[88:91], v255, s[8:9] offset:15488
	global_load_b128 v[92:95], v[92:93], off
	global_load_b128 v[96:99], v255, s[8:9] offset:16896
	global_load_b128 v[100:103], v[100:101], off
	s_wait_loadcnt 0xf
	v_mul_f64_e32 v[104:105], v[42:43], v[2:3]
	v_mul_f64_e32 v[2:3], v[40:41], v[2:3]
	s_wait_loadcnt 0xe
	v_mul_f64_e32 v[106:107], v[46:47], v[6:7]
	v_mul_f64_e32 v[6:7], v[44:45], v[6:7]
	;; [unrolled: 3-line block ×10, first 2 shown]
	v_fma_f64 v[38:39], v[40:41], v[0:1], v[104:105]
	v_fma_f64 v[40:41], v[42:43], v[0:1], -v[2:3]
	v_fma_f64 v[0:1], v[44:45], v[4:5], v[106:107]
	v_fma_f64 v[2:3], v[46:47], v[4:5], -v[6:7]
	s_wait_loadcnt 0x4
	v_mul_f64_e32 v[126:127], v[82:83], v[86:87]
	v_mul_f64_e32 v[86:87], v[80:81], v[86:87]
	s_wait_loadcnt 0x2
	v_mul_f64_e32 v[128:129], v[94:95], v[90:91]
	v_mul_f64_e32 v[90:91], v[92:93], v[90:91]
	;; [unrolled: 3-line block ×3, first 2 shown]
	v_fma_f64 v[4:5], v[48:49], v[8:9], v[108:109]
	v_fma_f64 v[6:7], v[50:51], v[8:9], -v[10:11]
	v_fma_f64 v[8:9], v[52:53], v[12:13], v[110:111]
	v_fma_f64 v[10:11], v[54:55], v[12:13], -v[14:15]
	;; [unrolled: 2-line block ×11, first 2 shown]
	ds_store_b128 v255, v[38:41]
	ds_store_b128 v255, v[0:3] offset:1408
	ds_store_b128 v255, v[4:7] offset:2816
	;; [unrolled: 1-line block ×12, first 2 shown]
.LBB0_3:
	s_or_b32 exec_lo, exec_lo, s3
	s_clause 0x1
	s_load_b64 s[4:5], s[0:1], 0x20
	s_load_b64 s[2:3], s[0:1], 0x8
	global_wb scope:SCOPE_SE
	s_wait_storecnt_dscnt 0x0
	s_wait_kmcnt 0x0
	s_barrier_signal -1
	s_barrier_wait -1
	global_inv scope:SCOPE_SE
                                        ; implicit-def: $vgpr12_vgpr13
                                        ; implicit-def: $vgpr36_vgpr37
                                        ; implicit-def: $vgpr32_vgpr33
                                        ; implicit-def: $vgpr24_vgpr25
                                        ; implicit-def: $vgpr20_vgpr21
                                        ; implicit-def: $vgpr8_vgpr9
                                        ; implicit-def: $vgpr0_vgpr1
                                        ; implicit-def: $vgpr4_vgpr5
                                        ; implicit-def: $vgpr16_vgpr17
                                        ; implicit-def: $vgpr28_vgpr29
                                        ; implicit-def: $vgpr44_vgpr45
                                        ; implicit-def: $vgpr48_vgpr49
                                        ; implicit-def: $vgpr40_vgpr41
	s_and_saveexec_b32 s0, vcc_lo
	s_cbranch_execz .LBB0_5
; %bb.4:
	ds_load_b128 v[12:15], v255
	ds_load_b128 v[40:43], v255 offset:1408
	ds_load_b128 v[36:39], v255 offset:2816
	;; [unrolled: 1-line block ×12, first 2 shown]
.LBB0_5:
	s_wait_alu 0xfffe
	s_or_b32 exec_lo, exec_lo, s0
	s_wait_dscnt 0x0
	v_add_f64_e64 v[150:151], v[42:43], -v[2:3]
	s_mov_b32 s10, 0x4267c47c
	s_mov_b32 s11, 0xbfddbe06
	v_add_f64_e64 v[72:73], v[40:41], -v[0:1]
	v_add_f64_e32 v[70:71], v[0:1], v[40:41]
	v_add_f64_e64 v[140:141], v[38:39], -v[6:7]
	s_mov_b32 s6, 0x42a4c3d2
	s_mov_b32 s16, 0xe00740e9
	;; [unrolled: 1-line block ×4, first 2 shown]
	v_add_f64_e32 v[152:153], v[2:3], v[42:43]
	v_add_f64_e64 v[80:81], v[36:37], -v[4:5]
	v_add_f64_e32 v[64:65], v[36:37], v[4:5]
	v_add_f64_e64 v[94:95], v[50:51], -v[10:11]
	s_mov_b32 s0, 0x1ea71119
	s_mov_b32 s14, 0x2ef20147
	;; [unrolled: 1-line block ×6, first 2 shown]
	v_add_f64_e32 v[144:145], v[38:39], v[6:7]
	v_add_f64_e64 v[118:119], v[48:49], -v[8:9]
	v_add_f64_e32 v[62:63], v[8:9], v[48:49]
	v_add_f64_e64 v[82:83], v[46:47], -v[18:19]
	s_mov_b32 s18, 0xb2365da1
	s_mov_b32 s20, 0x4bc48dbf
	;; [unrolled: 1-line block ×6, first 2 shown]
	v_add_f64_e32 v[148:149], v[10:11], v[50:51]
	v_add_f64_e64 v[116:117], v[34:35], -v[22:23]
	s_mov_b32 s24, 0x93053d00
	s_mov_b32 s22, 0x24c2f84
	s_mov_b32 s25, 0xbfef11f4
	s_mov_b32 s23, 0x3fe5384d
	s_mov_b32 s31, 0xbfe5384d
	s_mov_b32 s30, s22
	s_wait_alu 0xfffe
	v_mul_f64_e32 v[106:107], s[10:11], v[150:151]
	v_mul_f64_e32 v[110:111], s[6:7], v[150:151]
	v_add_f64_e64 v[128:129], v[30:31], -v[26:27]
	v_mul_f64_e32 v[108:109], s[10:11], v[72:73]
	v_mul_f64_e32 v[114:115], s[6:7], v[72:73]
	;; [unrolled: 1-line block ×4, first 2 shown]
	s_mov_b32 s28, 0xd0032e0c
	s_mov_b32 s29, 0xbfe7f3cc
	;; [unrolled: 1-line block ×4, first 2 shown]
	v_mul_f64_e32 v[90:91], s[6:7], v[80:81]
	v_mul_f64_e32 v[112:113], s[14:15], v[80:81]
	;; [unrolled: 1-line block ×4, first 2 shown]
	v_add_f64_e64 v[132:133], v[44:45], -v[16:17]
	v_add_f64_e32 v[154:155], v[18:19], v[46:47]
	v_add_f64_e32 v[124:125], v[34:35], v[22:23]
	s_mov_b32 s39, 0x3fddbe06
	s_mov_b32 s38, s10
	v_add_f64_e32 v[136:137], v[26:27], v[30:31]
	v_mul_f64_e32 v[122:123], s[26:27], v[118:119]
	v_mul_f64_e32 v[130:131], s[20:21], v[118:119]
	;; [unrolled: 1-line block ×5, first 2 shown]
	v_fma_f64 v[52:53], v[70:71], s[16:17], v[106:107]
	v_fma_f64 v[56:57], v[70:71], s[0:1], v[110:111]
	v_fma_f64 v[54:55], v[152:153], s[16:17], -v[108:109]
	v_fma_f64 v[58:59], v[152:153], s[0:1], -v[114:115]
	v_fma_f64 v[60:61], v[64:65], s[0:1], v[78:79]
	v_fma_f64 v[68:69], v[64:65], s[18:19], v[104:105]
	v_fma_f64 v[66:67], v[144:145], s[0:1], -v[90:91]
	v_fma_f64 v[74:75], v[144:145], s[18:19], -v[112:113]
	v_fma_f64 v[96:97], v[62:63], s[34:35], v[120:121]
	v_fma_f64 v[100:101], v[62:63], s[24:25], v[126:127]
	v_mul_f64_e32 v[138:139], s[14:15], v[132:133]
	v_mul_f64_e32 v[146:147], s[22:23], v[132:133]
	v_fma_f64 v[98:99], v[148:149], s[34:35], -v[122:123]
	v_fma_f64 v[102:103], v[148:149], s[24:25], -v[130:131]
	v_add_f64_e32 v[52:53], v[12:13], v[52:53]
	v_add_f64_e32 v[84:85], v[12:13], v[56:57]
	v_add_f64_e32 v[56:57], v[16:17], v[44:45]
	v_add_f64_e32 v[76:77], v[14:15], v[54:55]
	v_add_f64_e32 v[58:59], v[14:15], v[58:59]
	v_add_f64_e64 v[54:55], v[32:33], -v[20:21]
	v_fma_f64 v[158:159], v[154:155], s[18:19], -v[138:139]
	v_fma_f64 v[162:163], v[154:155], s[28:29], -v[146:147]
	v_add_f64_e32 v[60:61], v[60:61], v[52:53]
	v_add_f64_e32 v[68:69], v[68:69], v[84:85]
	v_mul_f64_e32 v[84:85], s[30:31], v[116:117]
	v_add_f64_e32 v[66:67], v[66:67], v[76:77]
	v_add_f64_e32 v[74:75], v[74:75], v[58:59]
	;; [unrolled: 1-line block ×3, first 2 shown]
	v_fma_f64 v[156:157], v[56:57], s[18:19], v[134:135]
	v_fma_f64 v[160:161], v[56:57], s[28:29], v[142:143]
	v_add_f64_e64 v[52:53], v[28:29], -v[24:25]
	v_mul_f64_e32 v[86:87], s[30:31], v[54:55]
	v_mul_f64_e32 v[92:93], s[36:37], v[54:55]
	v_add_f64_e32 v[96:97], v[96:97], v[60:61]
	v_add_f64_e32 v[100:101], v[100:101], v[68:69]
	;; [unrolled: 1-line block ×4, first 2 shown]
	v_mul_f64_e32 v[66:67], s[20:21], v[128:129]
	v_fma_f64 v[164:165], v[58:59], s[28:29], v[84:85]
	v_fma_f64 v[168:169], v[58:59], s[34:35], v[88:89]
	v_add_f64_e32 v[102:103], v[102:103], v[74:75]
	v_mul_f64_e32 v[68:69], s[20:21], v[52:53]
	v_mul_f64_e32 v[74:75], s[38:39], v[128:129]
	;; [unrolled: 1-line block ×3, first 2 shown]
	v_fma_f64 v[166:167], v[124:125], s[28:29], -v[86:87]
	v_fma_f64 v[170:171], v[124:125], s[34:35], -v[92:93]
	v_add_f64_e32 v[96:97], v[156:157], v[96:97]
	v_add_f64_e32 v[100:101], v[160:161], v[100:101]
	v_add_f64_e32 v[98:99], v[158:159], v[98:99]
	v_fma_f64 v[156:157], v[60:61], s[24:25], v[66:67]
	v_add_f64_e32 v[102:103], v[162:163], v[102:103]
	v_fma_f64 v[158:159], v[136:137], s[24:25], -v[68:69]
	v_fma_f64 v[160:161], v[60:61], s[16:17], v[74:75]
	v_fma_f64 v[162:163], v[136:137], s[16:17], -v[76:77]
	v_add_f64_e32 v[96:97], v[164:165], v[96:97]
	v_add_f64_e32 v[164:165], v[168:169], v[100:101]
	;; [unrolled: 1-line block ×4, first 2 shown]
	s_delay_alu instid0(VALU_DEP_4)
	v_add_f64_e32 v[100:101], v[156:157], v[96:97]
	scratch_load_b32 v156, off, off         ; 4-byte Folded Reload
	v_add_f64_e32 v[96:97], v[160:161], v[164:165]
	v_add_f64_e32 v[102:103], v[158:159], v[98:99]
	;; [unrolled: 1-line block ×3, first 2 shown]
	s_wait_loadcnt 0x0
	v_mul_lo_u16 v156, v156, 13
	scratch_store_b32 off, v156, off offset:12 ; 4-byte Folded Spill
	global_wb scope:SCOPE_SE
	s_wait_storecnt 0x0
	s_barrier_signal -1
	s_barrier_wait -1
	global_inv scope:SCOPE_SE
	s_and_saveexec_b32 s33, vcc_lo
	s_cbranch_execz .LBB0_7
; %bb.6:
	v_add_f64_e32 v[42:43], v[14:15], v[42:43]
	v_add_f64_e32 v[40:41], v[12:13], v[40:41]
	v_mul_f64_e32 v[158:159], s[18:19], v[152:153]
	v_mul_f64_e32 v[162:163], s[16:17], v[152:153]
	;; [unrolled: 1-line block ×3, first 2 shown]
	s_mov_b32 s41, 0x3fedeba7
	s_mov_b32 s40, s14
	;; [unrolled: 1-line block ×4, first 2 shown]
	v_mul_f64_e32 v[156:157], s[16:17], v[70:71]
	v_mul_f64_e32 v[160:161], s[14:15], v[150:151]
	;; [unrolled: 1-line block ×19, first 2 shown]
	s_mov_b32 s43, 0x3fea55e2
	s_mov_b32 s42, s6
	v_mul_f64_e32 v[174:175], s[24:25], v[148:149]
	v_mul_f64_e32 v[178:179], s[28:29], v[154:155]
	;; [unrolled: 1-line block ×8, first 2 shown]
	v_add_f64_e32 v[38:39], v[38:39], v[42:43]
	v_add_f64_e32 v[36:37], v[36:37], v[40:41]
	v_mul_f64_e32 v[40:41], s[24:25], v[152:153]
	v_mul_f64_e32 v[42:43], s[20:21], v[150:151]
	v_fma_f64 v[238:239], v[72:73], s[40:41], v[158:159]
	v_fma_f64 v[158:159], v[72:73], s[14:15], v[158:159]
	;; [unrolled: 1-line block ×3, first 2 shown]
	v_add_f64_e32 v[108:109], v[108:109], v[162:163]
	v_mul_f64_e32 v[214:215], s[38:39], v[82:83]
	v_add_f64_e64 v[106:107], v[156:157], -v[106:107]
	v_fma_f64 v[240:241], v[70:71], s[18:19], v[160:161]
	v_fma_f64 v[160:161], v[70:71], s[18:19], -v[160:161]
	v_add_f64_e64 v[110:111], v[164:165], -v[110:111]
	v_add_f64_e32 v[112:113], v[112:113], v[170:171]
	v_add_f64_e64 v[126:127], v[172:173], -v[126:127]
	v_fma_f64 v[156:157], v[80:81], s[10:11], v[180:181]
	v_fma_f64 v[162:163], v[80:81], s[38:39], v[180:181]
	;; [unrolled: 1-line block ×9, first 2 shown]
	v_fma_f64 v[188:189], v[64:65], s[16:17], -v[188:189]
	v_add_f64_e64 v[104:105], v[168:169], -v[104:105]
	v_fma_f64 v[168:169], v[64:65], s[34:35], v[202:203]
	v_add_f64_e64 v[134:135], v[206:207], -v[134:135]
	v_fma_f64 v[202:203], v[64:65], s[34:35], -v[202:203]
	v_mul_f64_e32 v[176:177], s[28:29], v[56:57]
	v_add_f64_e32 v[130:131], v[130:131], v[174:175]
	v_mul_f64_e32 v[144:145], s[0:1], v[144:145]
	v_add_f64_e32 v[146:147], v[146:147], v[178:179]
	v_mul_f64_e32 v[178:179], s[34:35], v[124:125]
	v_mul_f64_e32 v[226:227], s[34:35], v[58:59]
	;; [unrolled: 1-line block ×4, first 2 shown]
	v_add_f64_e64 v[78:79], v[212:213], -v[78:79]
	v_add_f64_e32 v[38:39], v[50:51], v[38:39]
	v_add_f64_e32 v[36:37], v[48:49], v[36:37]
	v_mul_f64_e32 v[48:49], s[28:29], v[152:153]
	v_mul_f64_e32 v[50:51], s[30:31], v[150:151]
	;; [unrolled: 1-line block ×4, first 2 shown]
	v_fma_f64 v[230:231], v[72:73], s[44:45], v[40:41]
	v_fma_f64 v[232:233], v[70:71], s[24:25], v[42:43]
	;; [unrolled: 1-line block ×3, first 2 shown]
	v_fma_f64 v[42:43], v[70:71], s[24:25], -v[42:43]
	v_add_f64_e32 v[240:241], v[12:13], v[240:241]
	v_add_f64_e32 v[160:161], v[12:13], v[160:161]
	;; [unrolled: 1-line block ×3, first 2 shown]
	v_mul_f64_e32 v[212:213], s[38:39], v[116:117]
	v_add_f64_e32 v[242:243], v[14:15], v[242:243]
	v_add_f64_e32 v[238:239], v[14:15], v[238:239]
	;; [unrolled: 1-line block ×3, first 2 shown]
	v_mul_f64_e32 v[208:209], s[34:35], v[62:63]
	v_mul_f64_e32 v[224:225], s[28:29], v[124:125]
	;; [unrolled: 1-line block ×6, first 2 shown]
	v_add_f64_e64 v[142:143], v[176:177], -v[142:143]
	v_mul_f64_e32 v[176:177], s[16:17], v[60:61]
	v_add_f64_e32 v[90:91], v[90:91], v[144:145]
	v_add_f64_e32 v[92:93], v[92:93], v[178:179]
	v_add_f64_e64 v[88:89], v[226:227], -v[88:89]
	v_add_f64_e32 v[38:39], v[46:47], v[38:39]
	v_add_f64_e32 v[36:37], v[44:45], v[36:37]
	v_mul_f64_e32 v[44:45], s[0:1], v[154:155]
	v_mul_f64_e32 v[46:47], s[28:29], v[148:149]
	v_fma_f64 v[234:235], v[72:73], s[22:23], v[48:49]
	v_fma_f64 v[236:237], v[70:71], s[28:29], v[50:51]
	;; [unrolled: 1-line block ×4, first 2 shown]
	v_add_f64_e32 v[114:115], v[114:115], v[152:153]
	v_mul_f64_e32 v[154:155], s[18:19], v[154:155]
	v_mul_f64_e32 v[148:149], s[34:35], v[148:149]
	v_fma_f64 v[50:51], v[70:71], s[28:29], -v[50:51]
	v_fma_f64 v[244:245], v[70:71], s[34:35], v[150:151]
	v_fma_f64 v[70:71], v[70:71], s[34:35], -v[150:151]
	v_fma_f64 v[166:167], v[118:119], s[42:43], v[184:185]
	v_fma_f64 v[184:185], v[118:119], s[6:7], v[184:185]
	v_add_f64_e32 v[206:207], v[12:13], v[232:233]
	v_add_f64_e32 v[40:41], v[14:15], v[40:41]
	;; [unrolled: 1-line block ×5, first 2 shown]
	v_mul_f64_e32 v[232:233], s[16:17], v[124:125]
	v_add_f64_e64 v[120:121], v[208:209], -v[120:121]
	v_mul_f64_e32 v[230:231], s[18:19], v[136:137]
	v_mul_f64_e32 v[208:209], s[14:15], v[128:129]
	v_add_f64_e32 v[86:87], v[86:87], v[224:225]
	v_add_f64_e64 v[84:85], v[222:223], -v[84:85]
	v_add_f64_e32 v[68:69], v[68:69], v[170:171]
	v_add_f64_e64 v[66:67], v[174:175], -v[66:67]
	v_add_f64_e64 v[74:75], v[176:177], -v[74:75]
	v_add_f64_e32 v[34:35], v[34:35], v[38:39]
	v_add_f64_e32 v[32:33], v[32:33], v[36:37]
	v_fma_f64 v[150:151], v[132:133], s[6:7], v[44:45]
	v_fma_f64 v[152:153], v[118:119], s[22:23], v[46:47]
	;; [unrolled: 1-line block ×4, first 2 shown]
	v_add_f64_e32 v[236:237], v[12:13], v[236:237]
	v_add_f64_e32 v[48:49], v[14:15], v[48:49]
	v_add_f64_e32 v[72:73], v[14:15], v[72:73]
	v_add_f64_e32 v[114:115], v[14:15], v[114:115]
	v_add_f64_e32 v[138:139], v[138:139], v[154:155]
	v_fma_f64 v[154:155], v[64:65], s[28:29], v[204:205]
	v_fma_f64 v[204:205], v[64:65], s[28:29], -v[204:205]
	v_add_f64_e32 v[122:123], v[122:123], v[148:149]
	v_fma_f64 v[148:149], v[64:65], s[24:25], v[140:141]
	v_fma_f64 v[64:65], v[64:65], s[24:25], -v[140:141]
	v_add_f64_e32 v[50:51], v[12:13], v[50:51]
	v_add_f64_e32 v[70:71], v[12:13], v[70:71]
	;; [unrolled: 1-line block ×4, first 2 shown]
	v_fma_f64 v[106:107], v[62:63], s[0:1], v[218:219]
	v_add_f64_e32 v[172:173], v[172:173], v[206:207]
	v_mul_f64_e32 v[206:207], s[42:43], v[82:83]
	v_add_f64_e32 v[40:41], v[162:163], v[40:41]
	v_mul_f64_e32 v[82:83], s[44:45], v[82:83]
	;; [unrolled: 2-line block ×3, first 2 shown]
	v_mul_f64_e32 v[38:39], s[36:37], v[128:129]
	v_mul_f64_e32 v[140:141], s[16:17], v[136:137]
	v_add_f64_e32 v[234:235], v[14:15], v[234:235]
	v_add_f64_e32 v[14:15], v[14:15], v[108:109]
	v_fma_f64 v[108:109], v[62:63], s[0:1], -v[218:219]
	v_add_f64_e32 v[104:105], v[126:127], v[104:105]
	v_fma_f64 v[218:219], v[62:63], s[16:17], -v[220:221]
	v_add_f64_e32 v[144:145], v[156:157], v[144:145]
	v_mul_f64_e32 v[156:157], s[24:25], v[124:125]
	v_mul_f64_e32 v[124:125], s[0:1], v[124:125]
	;; [unrolled: 1-line block ×3, first 2 shown]
	v_add_f64_e32 v[30:31], v[30:31], v[34:35]
	v_add_f64_e32 v[28:29], v[28:29], v[32:33]
	v_fma_f64 v[32:33], v[80:81], s[30:31], v[194:195]
	v_fma_f64 v[34:35], v[132:133], s[26:27], v[190:191]
	;; [unrolled: 1-line block ×10, first 2 shown]
	v_add_f64_e32 v[168:169], v[168:169], v[236:237]
	v_add_f64_e32 v[48:49], v[186:187], v[48:49]
	v_mul_f64_e32 v[200:201], s[14:15], v[116:117]
	v_add_f64_e32 v[110:111], v[154:155], v[240:241]
	v_add_f64_e32 v[50:51], v[202:203], v[50:51]
	;; [unrolled: 1-line block ×5, first 2 shown]
	v_mul_f64_e32 v[116:117], s[44:45], v[116:117]
	v_fma_f64 v[78:79], v[56:57], s[16:17], v[214:215]
	v_fma_f64 v[202:203], v[56:57], s[0:1], -v[206:207]
	v_add_f64_e32 v[40:41], v[46:47], v[40:41]
	v_fma_f64 v[204:205], v[56:57], s[24:25], v[82:83]
	v_mul_f64_e32 v[188:189], s[30:31], v[128:129]
	v_fma_f64 v[154:155], v[54:55], s[40:41], v[36:37]
	v_fma_f64 v[160:161], v[60:61], s[34:35], v[38:39]
	;; [unrolled: 1-line block ×3, first 2 shown]
	v_fma_f64 v[38:39], v[60:61], s[34:35], -v[38:39]
	v_add_f64_e32 v[76:77], v[76:77], v[140:141]
	v_add_f64_e32 v[180:181], v[180:181], v[234:235]
	;; [unrolled: 1-line block ×3, first 2 shown]
	v_fma_f64 v[90:91], v[56:57], s[16:17], -v[214:215]
	v_mul_f64_e32 v[128:129], s[42:43], v[128:129]
	v_fma_f64 v[126:127], v[58:59], s[0:1], v[162:163]
	v_add_f64_e32 v[26:27], v[26:27], v[30:31]
	v_add_f64_e32 v[24:25], v[24:25], v[28:29]
	v_fma_f64 v[30:31], v[62:63], s[28:29], -v[216:217]
	v_fma_f64 v[28:29], v[62:63], s[28:29], v[216:217]
	v_fma_f64 v[216:217], v[62:63], s[16:17], v[220:221]
	;; [unrolled: 1-line block ×3, first 2 shown]
	v_fma_f64 v[62:63], v[62:63], s[18:19], -v[94:95]
	v_add_f64_e32 v[158:159], v[192:193], v[158:159]
	v_add_f64_e32 v[32:33], v[32:33], v[238:239]
	v_mul_f64_e32 v[94:95], s[0:1], v[136:137]
	v_mul_f64_e32 v[136:137], s[28:29], v[136:137]
	v_add_f64_e32 v[72:73], v[80:81], v[72:73]
	v_add_f64_e32 v[80:81], v[112:113], v[114:115]
	;; [unrolled: 1-line block ×5, first 2 shown]
	v_fma_f64 v[198:199], v[58:59], s[18:19], -v[200:201]
	v_add_f64_e32 v[50:51], v[108:109], v[50:51]
	v_add_f64_e32 v[114:115], v[148:149], v[244:245]
	v_fma_f64 v[186:187], v[58:59], s[18:19], v[200:201]
	v_fma_f64 v[200:201], v[56:57], s[0:1], v[206:207]
	v_add_f64_e32 v[12:13], v[120:121], v[12:13]
	v_fma_f64 v[120:121], v[54:55], s[44:45], v[156:157]
	v_add_f64_e32 v[40:41], v[44:45], v[40:41]
	v_fma_f64 v[148:149], v[52:53], s[26:27], v[228:229]
	v_fma_f64 v[192:193], v[52:53], s[36:37], v[228:229]
	v_add_f64_e32 v[14:15], v[122:123], v[14:15]
	v_fma_f64 v[122:123], v[54:55], s[42:43], v[124:125]
	v_add_f64_e32 v[22:23], v[22:23], v[26:27]
	v_add_f64_e32 v[20:21], v[20:21], v[24:25]
	;; [unrolled: 1-line block ×5, first 2 shown]
	v_fma_f64 v[26:27], v[56:57], s[34:35], -v[210:211]
	v_add_f64_e32 v[62:63], v[62:63], v[64:65]
	v_add_f64_e32 v[106:107], v[190:191], v[158:159]
	;; [unrolled: 1-line block ×3, first 2 shown]
	v_fma_f64 v[24:25], v[56:57], s[34:35], v[210:211]
	v_fma_f64 v[56:57], v[56:57], s[24:25], -v[82:83]
	v_add_f64_e32 v[72:73], v[118:119], v[72:73]
	v_add_f64_e32 v[80:81], v[130:131], v[80:81]
	;; [unrolled: 1-line block ×5, first 2 shown]
	v_fma_f64 v[112:113], v[54:55], s[38:39], v[232:233]
	v_add_f64_e32 v[82:83], v[152:153], v[144:145]
	v_add_f64_e32 v[32:33], v[248:249], v[32:33]
	;; [unrolled: 1-line block ×4, first 2 shown]
	v_fma_f64 v[118:119], v[54:55], s[20:21], v[156:157]
	v_fma_f64 v[114:115], v[58:59], s[16:17], -v[212:213]
	v_add_f64_e32 v[36:37], v[36:37], v[40:41]
	v_fma_f64 v[130:131], v[58:59], s[24:25], v[116:117]
	v_add_f64_e32 v[12:13], v[134:135], v[12:13]
	v_add_f64_e32 v[14:15], v[138:139], v[14:15]
	;; [unrolled: 1-line block ×4, first 2 shown]
	v_fma_f64 v[22:23], v[58:59], s[16:17], v[212:213]
	v_add_f64_e32 v[30:31], v[202:203], v[30:31]
	v_add_f64_e32 v[28:29], v[200:201], v[28:29]
	v_fma_f64 v[20:21], v[54:55], s[10:11], v[232:233]
	v_fma_f64 v[54:55], v[54:55], s[6:7], v[124:125]
	v_fma_f64 v[124:125], v[58:59], s[0:1], -v[162:163]
	v_add_f64_e32 v[42:43], v[164:165], v[42:43]
	v_add_f64_e32 v[62:63], v[90:91], v[62:63]
	v_fma_f64 v[58:59], v[58:59], s[24:25], -v[116:117]
	v_add_f64_e32 v[48:49], v[132:133], v[72:73]
	v_add_f64_e32 v[72:73], v[146:147], v[80:81]
	;; [unrolled: 1-line block ×12, first 2 shown]
	v_fma_f64 v[70:71], v[52:53], s[14:15], v[230:231]
	v_fma_f64 v[90:91], v[52:53], s[6:7], v[94:95]
	;; [unrolled: 1-line block ×4, first 2 shown]
	v_fma_f64 v[108:109], v[60:61], s[28:29], -v[188:189]
	v_fma_f64 v[78:79], v[60:61], s[18:19], -v[208:209]
	v_fma_f64 v[106:107], v[60:61], s[28:29], v[188:189]
	v_fma_f64 v[110:111], v[60:61], s[0:1], v[128:129]
	v_add_f64_e32 v[84:85], v[84:85], v[12:13]
	v_add_f64_e32 v[10:11], v[10:11], v[18:19]
	;; [unrolled: 1-line block ×6, first 2 shown]
	v_fma_f64 v[16:17], v[52:53], s[40:41], v[230:231]
	v_fma_f64 v[52:53], v[52:53], s[30:31], v[136:137]
	;; [unrolled: 1-line block ×3, first 2 shown]
	v_add_f64_e32 v[20:21], v[20:21], v[42:43]
	v_fma_f64 v[60:61], v[60:61], s[0:1], -v[128:129]
	v_add_f64_e32 v[42:43], v[54:55], v[48:49]
	v_add_f64_e32 v[44:45], v[92:93], v[72:73]
	;; [unrolled: 1-line block ×24, first 2 shown]
	scratch_load_b32 v44, off, off offset:12 ; 4-byte Folded Reload
	v_add_f64_e32 v[28:29], v[74:75], v[46:47]
	v_add_f64_e32 v[24:25], v[108:109], v[48:49]
	;; [unrolled: 1-line block ×13, first 2 shown]
	s_wait_loadcnt 0x0
	v_and_b32_e32 v44, 0xffff, v44
	s_delay_alu instid0(VALU_DEP_1)
	v_lshlrev_b32_e32 v44, 4, v44
	ds_store_b128 v44, v[28:31] offset:32
	ds_store_b128 v44, v[24:27] offset:48
	;; [unrolled: 1-line block ×10, first 2 shown]
	ds_store_b128 v44, v[0:3]
	ds_store_b128 v44, v[40:43] offset:16
	ds_store_b128 v44, v[100:103] offset:192
.LBB0_7:
	s_or_b32 exec_lo, exec_lo, s33
	scratch_load_b32 v248, off, off         ; 4-byte Folded Reload
	s_load_b128 s[4:7], s[4:5], 0x0
	global_wb scope:SCOPE_SE
	s_wait_loadcnt_dscnt 0x0
	s_wait_kmcnt 0x0
	s_barrier_signal -1
	s_barrier_wait -1
	global_inv scope:SCOPE_SE
	s_mov_b32 s24, 0xf8bb580b
	s_mov_b32 s25, 0xbfe14ced
	;; [unrolled: 1-line block ×16, first 2 shown]
	s_wait_alu 0xfffe
	s_mov_b32 s30, s24
	s_mov_b32 s15, 0xbfc2375f
	;; [unrolled: 1-line block ×10, first 2 shown]
	v_and_b32_e32 v0, 0xff, v248
	s_delay_alu instid0(VALU_DEP_1) | instskip(NEXT) | instid1(VALU_DEP_1)
	v_mul_lo_u16 v0, 0x4f, v0
	v_lshrrev_b16 v60, 10, v0
	s_delay_alu instid0(VALU_DEP_1) | instskip(NEXT) | instid1(VALU_DEP_1)
	v_mul_lo_u16 v0, v60, 13
	v_sub_nc_u16 v0, v248, v0
	s_delay_alu instid0(VALU_DEP_1) | instskip(NEXT) | instid1(VALU_DEP_1)
	v_and_b32_e32 v61, 0xff, v0
	v_mul_u32_u24_e32 v0, 10, v61
	s_delay_alu instid0(VALU_DEP_1)
	v_lshlrev_b32_e32 v4, 4, v0
	s_clause 0x9
	global_load_b128 v[0:3], v4, s[2:3]
	global_load_b128 v[28:31], v4, s[2:3] offset:144
	global_load_b128 v[36:39], v4, s[2:3] offset:16
	global_load_b128 v[24:27], v4, s[2:3] offset:128
	global_load_b128 v[32:35], v4, s[2:3] offset:32
	global_load_b128 v[20:23], v4, s[2:3] offset:112
	global_load_b128 v[16:19], v4, s[2:3] offset:48
	global_load_b128 v[12:15], v4, s[2:3] offset:96
	global_load_b128 v[8:11], v4, s[2:3] offset:64
	global_load_b128 v[4:7], v4, s[2:3] offset:80
	ds_load_b128 v[44:47], v255 offset:1664
	ds_load_b128 v[40:43], v255
	ds_load_b128 v[48:51], v255 offset:16640
	ds_load_b128 v[52:55], v255 offset:3328
	;; [unrolled: 1-line block ×9, first 2 shown]
	s_wait_loadcnt_dscnt 0x90a
	v_mul_f64_e32 v[86:87], v[46:47], v[2:3]
	v_mul_f64_e32 v[88:89], v[44:45], v[2:3]
	s_wait_loadcnt_dscnt 0x808
	v_mul_f64_e32 v[90:91], v[48:49], v[30:31]
	v_mul_f64_e32 v[92:93], v[50:51], v[30:31]
	;; [unrolled: 3-line block ×5, first 2 shown]
	v_mul_f64_e32 v[106:107], v[56:57], v[26:27]
	v_mul_f64_e32 v[108:109], v[58:59], v[26:27]
	s_wait_loadcnt_dscnt 0x302
	v_mul_f64_e32 v[118:119], v[76:77], v[18:19]
	s_wait_loadcnt 0x2
	v_mul_f64_e32 v[122:123], v[72:73], v[14:15]
	v_mul_f64_e32 v[124:125], v[70:71], v[14:15]
	s_wait_loadcnt_dscnt 0x101
	v_mul_f64_e32 v[126:127], v[80:81], v[10:11]
	v_mul_f64_e32 v[128:129], v[78:79], v[10:11]
	s_wait_loadcnt_dscnt 0x0
	v_mul_f64_e32 v[130:131], v[84:85], v[6:7]
	v_mul_f64_e32 v[120:121], v[74:75], v[18:19]
	;; [unrolled: 1-line block ×3, first 2 shown]
	scratch_store_b128 off, v[0:3], off offset:16 ; 16-byte Folded Spill
	global_wb scope:SCOPE_SE
	s_wait_storecnt 0x0
	s_barrier_signal -1
	s_barrier_wait -1
	global_inv scope:SCOPE_SE
	v_fma_f64 v[86:87], v[44:45], v[0:1], -v[86:87]
	v_fma_f64 v[88:89], v[46:47], v[0:1], v[88:89]
	v_fma_f64 v[44:45], v[50:51], v[28:29], v[90:91]
	v_fma_f64 v[46:47], v[48:49], v[28:29], -v[92:93]
	v_fma_f64 v[90:91], v[52:53], v[36:37], -v[94:95]
	v_fma_f64 v[92:93], v[54:55], v[36:37], v[104:105]
	v_fma_f64 v[62:63], v[62:63], v[32:33], -v[110:111]
	v_fma_f64 v[64:65], v[64:65], v[32:33], v[112:113]
	v_fma_f64 v[52:53], v[68:69], v[20:21], v[114:115]
	v_fma_f64 v[54:55], v[66:67], v[20:21], -v[116:117]
	v_fma_f64 v[48:49], v[58:59], v[24:25], v[106:107]
	v_fma_f64 v[50:51], v[56:57], v[24:25], -v[108:109]
	v_fma_f64 v[66:67], v[74:75], v[16:17], -v[118:119]
	;; [unrolled: 1-line block ×3, first 2 shown]
	v_fma_f64 v[58:59], v[72:73], v[12:13], v[124:125]
	v_fma_f64 v[70:71], v[78:79], v[8:9], -v[126:127]
	v_fma_f64 v[72:73], v[80:81], v[8:9], v[128:129]
	v_fma_f64 v[74:75], v[82:83], v[4:5], -v[130:131]
	v_fma_f64 v[68:69], v[76:77], v[16:17], v[120:121]
	v_fma_f64 v[76:77], v[84:85], v[4:5], v[132:133]
	v_add_f64_e32 v[94:95], v[40:41], v[86:87]
	v_add_f64_e32 v[104:105], v[42:43], v[88:89]
	v_add_f64_e64 v[78:79], v[88:89], -v[44:45]
	v_add_f64_e64 v[80:81], v[86:87], -v[46:47]
	v_add_f64_e32 v[86:87], v[86:87], v[46:47]
	v_add_f64_e32 v[88:89], v[88:89], v[44:45]
	v_add_f64_e64 v[106:107], v[64:65], -v[52:53]
	v_add_f64_e64 v[108:109], v[62:63], -v[54:55]
	;; [unrolled: 4-line block ×3, first 2 shown]
	v_add_f64_e32 v[114:115], v[66:67], v[56:57]
	v_add_f64_e64 v[118:119], v[66:67], -v[56:57]
	v_add_f64_e64 v[126:127], v[70:71], -v[74:75]
	;; [unrolled: 1-line block ×3, first 2 shown]
	v_add_f64_e32 v[120:121], v[68:69], v[58:59]
	v_add_f64_e64 v[128:129], v[72:73], -v[76:77]
	v_add_f64_e32 v[122:123], v[70:71], v[74:75]
	v_add_f64_e32 v[124:125], v[72:73], v[76:77]
	;; [unrolled: 1-line block ×4, first 2 shown]
	v_mul_f64_e32 v[130:131], s[24:25], v[78:79]
	v_mul_f64_e32 v[132:133], s[24:25], v[80:81]
	v_mul_f64_e32 v[134:135], s[20:21], v[78:79]
	v_mul_f64_e32 v[136:137], s[20:21], v[80:81]
	v_mul_f64_e32 v[138:139], s[22:23], v[78:79]
	v_mul_f64_e32 v[140:141], s[22:23], v[80:81]
	v_mul_f64_e32 v[142:143], s[26:27], v[78:79]
	v_mul_f64_e32 v[144:145], s[26:27], v[80:81]
	v_mul_f64_e32 v[78:79], s[28:29], v[78:79]
	v_mul_f64_e32 v[80:81], s[28:29], v[80:81]
	v_mul_f64_e32 v[146:147], s[20:21], v[82:83]
	v_mul_f64_e32 v[148:149], s[20:21], v[84:85]
	s_mov_b32 s21, 0x3fed1bb4
	v_add_f64_e32 v[90:91], v[90:91], v[50:51]
	v_add_f64_e32 v[92:93], v[92:93], v[48:49]
	v_mul_f64_e32 v[150:151], s[26:27], v[82:83]
	v_mul_f64_e32 v[152:153], s[26:27], v[84:85]
	;; [unrolled: 1-line block ×3, first 2 shown]
	s_wait_alu 0xfffe
	v_mul_f64_e32 v[196:197], s[30:31], v[126:127]
	v_mul_f64_e32 v[200:201], s[26:27], v[126:127]
	;; [unrolled: 1-line block ×18, first 2 shown]
	v_add_f64_e32 v[62:63], v[94:95], v[62:63]
	v_add_f64_e32 v[64:65], v[104:105], v[64:65]
	v_mul_f64_e32 v[94:95], s[34:35], v[82:83]
	v_mul_f64_e32 v[104:105], s[34:35], v[84:85]
	v_fma_f64 v[206:207], v[86:87], s[10:11], -v[134:135]
	v_fma_f64 v[208:209], v[88:89], s[10:11], v[136:137]
	v_fma_f64 v[210:211], v[86:87], s[14:15], -v[138:139]
	v_fma_f64 v[212:213], v[88:89], s[14:15], v[140:141]
	v_fma_f64 v[134:135], v[86:87], s[10:11], v[134:135]
	;; [unrolled: 1-line block ×3, first 2 shown]
	v_fma_f64 v[214:215], v[86:87], s[16:17], -v[142:143]
	v_fma_f64 v[216:217], v[88:89], s[16:17], v[144:145]
	v_mul_f64_e32 v[82:83], s[30:31], v[82:83]
	v_mul_f64_e32 v[84:85], s[30:31], v[84:85]
	v_fma_f64 v[142:143], v[86:87], s[16:17], v[142:143]
	v_fma_f64 v[218:219], v[86:87], s[18:19], -v[78:79]
	v_fma_f64 v[220:221], v[88:89], s[18:19], v[80:81]
	v_fma_f64 v[78:79], v[86:87], s[18:19], v[78:79]
	v_fma_f64 v[80:81], v[88:89], s[18:19], -v[80:81]
	v_fma_f64 v[144:145], v[88:89], s[16:17], -v[144:145]
	;; [unrolled: 1-line block ×5, first 2 shown]
	v_fma_f64 v[224:225], v[92:93], s[16:17], v[152:153]
	v_fma_f64 v[150:151], v[90:91], s[16:17], v[150:151]
	v_fma_f64 v[230:231], v[90:91], s[14:15], -v[154:155]
	v_fma_f64 v[232:233], v[92:93], s[14:15], v[156:157]
	v_fma_f64 v[154:155], v[90:91], s[14:15], v[154:155]
	v_fma_f64 v[152:153], v[92:93], s[16:17], -v[152:153]
	v_mul_f64_e32 v[180:181], s[36:37], v[118:119]
	v_mul_f64_e32 v[182:183], s[24:25], v[116:117]
	;; [unrolled: 1-line block ×8, first 2 shown]
	v_fma_f64 v[234:235], v[110:111], s[18:19], -v[162:163]
	v_add_f64_e32 v[62:63], v[62:63], v[66:67]
	v_add_f64_e32 v[64:65], v[64:65], v[68:69]
	v_mul_f64_e32 v[66:67], s[20:21], v[126:127]
	v_fma_f64 v[68:69], v[86:87], s[0:1], -v[130:131]
	v_fma_f64 v[126:127], v[88:89], s[0:1], v[132:133]
	v_fma_f64 v[130:131], v[86:87], s[0:1], v[130:131]
	v_fma_f64 v[132:133], v[88:89], s[0:1], -v[132:133]
	v_fma_f64 v[86:87], v[90:91], s[10:11], -v[146:147]
	v_fma_f64 v[88:89], v[92:93], s[10:11], v[148:149]
	v_fma_f64 v[146:147], v[90:91], s[10:11], v[146:147]
	v_fma_f64 v[148:149], v[92:93], s[10:11], -v[148:149]
	v_add_f64_e32 v[206:207], v[40:41], v[206:207]
	v_add_f64_e32 v[208:209], v[42:43], v[208:209]
	v_fma_f64 v[226:227], v[90:91], s[18:19], -v[94:95]
	v_fma_f64 v[228:229], v[92:93], s[18:19], v[104:105]
	v_add_f64_e32 v[210:211], v[40:41], v[210:211]
	v_add_f64_e32 v[212:213], v[42:43], v[212:213]
	v_fma_f64 v[94:95], v[90:91], s[18:19], v[94:95]
	v_add_f64_e32 v[134:135], v[40:41], v[134:135]
	v_add_f64_e32 v[138:139], v[40:41], v[138:139]
	;; [unrolled: 1-line block ×7, first 2 shown]
	v_fma_f64 v[104:105], v[92:93], s[18:19], -v[104:105]
	v_add_f64_e32 v[140:141], v[42:43], v[140:141]
	v_add_f64_e32 v[136:137], v[42:43], v[136:137]
	v_fma_f64 v[236:237], v[112:113], s[18:19], v[164:165]
	v_fma_f64 v[162:163], v[110:111], s[18:19], v[162:163]
	v_fma_f64 v[164:165], v[112:113], s[18:19], -v[164:165]
	v_fma_f64 v[238:239], v[110:111], s[0:1], -v[166:167]
	v_fma_f64 v[240:241], v[112:113], s[0:1], v[168:169]
	v_fma_f64 v[166:167], v[110:111], s[0:1], v[166:167]
	v_fma_f64 v[168:169], v[112:113], s[0:1], -v[168:169]
	v_fma_f64 v[246:247], v[110:111], s[10:11], -v[106:107]
	v_fma_f64 v[106:107], v[110:111], s[10:11], v[106:107]
	v_mul_f64_e32 v[194:195], s[30:31], v[128:129]
	v_add_f64_e32 v[62:63], v[62:63], v[70:71]
	v_add_f64_e32 v[64:65], v[64:65], v[72:73]
	v_fma_f64 v[70:71], v[92:93], s[14:15], -v[156:157]
	v_add_f64_e32 v[68:69], v[40:41], v[68:69]
	v_fma_f64 v[72:73], v[90:91], s[0:1], -v[82:83]
	v_add_f64_e32 v[130:131], v[40:41], v[130:131]
	v_add_f64_e32 v[132:133], v[42:43], v[132:133]
	v_fma_f64 v[156:157], v[92:93], s[0:1], v[84:85]
	v_fma_f64 v[82:83], v[90:91], s[0:1], v[82:83]
	v_fma_f64 v[84:85], v[92:93], s[0:1], -v[84:85]
	v_add_f64_e32 v[40:41], v[40:41], v[78:79]
	v_add_f64_e32 v[78:79], v[42:43], v[80:81]
	v_add_f64_e32 v[80:81], v[42:43], v[144:145]
	v_add_f64_e32 v[42:43], v[42:43], v[126:127]
	v_fma_f64 v[90:91], v[110:111], s[14:15], -v[158:159]
	v_fma_f64 v[92:93], v[112:113], s[14:15], v[160:161]
	v_fma_f64 v[158:159], v[110:111], s[14:15], v[158:159]
	v_fma_f64 v[160:161], v[112:113], s[14:15], -v[160:161]
	v_fma_f64 v[126:127], v[110:111], s[16:17], v[170:171]
	v_fma_f64 v[144:145], v[112:113], s[16:17], -v[172:173]
	v_add_f64_e32 v[134:135], v[150:151], v[134:135]
	v_add_f64_e32 v[94:95], v[94:95], v[138:139]
	;; [unrolled: 1-line block ×5, first 2 shown]
	v_fma_f64 v[242:243], v[114:115], s[14:15], -v[178:179]
	v_fma_f64 v[244:245], v[120:121], s[14:15], v[180:181]
	v_fma_f64 v[178:179], v[114:115], s[14:15], v[178:179]
	v_mul_f64_e32 v[198:199], s[26:27], v[128:129]
	v_mul_f64_e32 v[202:203], s[22:23], v[128:129]
	;; [unrolled: 1-line block ×3, first 2 shown]
	v_fma_f64 v[180:181], v[120:121], s[14:15], -v[180:181]
	v_add_f64_e32 v[62:63], v[62:63], v[74:75]
	v_add_f64_e32 v[64:65], v[64:65], v[76:77]
	v_fma_f64 v[74:75], v[110:111], s[16:17], -v[170:171]
	v_fma_f64 v[76:77], v[112:113], s[16:17], v[172:173]
	v_fma_f64 v[110:111], v[112:113], s[10:11], v[108:109]
	v_fma_f64 v[108:109], v[112:113], s[10:11], -v[108:109]
	v_add_f64_e32 v[68:69], v[86:87], v[68:69]
	v_add_f64_e32 v[86:87], v[146:147], v[130:131]
	;; [unrolled: 1-line block ×15, first 2 shown]
	v_fma_f64 v[170:171], v[114:115], s[16:17], -v[174:175]
	v_fma_f64 v[172:173], v[120:121], s[16:17], v[176:177]
	v_fma_f64 v[174:175], v[114:115], s[16:17], v[174:175]
	v_fma_f64 v[176:177], v[120:121], s[16:17], -v[176:177]
	v_fma_f64 v[84:85], v[114:115], s[0:1], v[182:183]
	v_fma_f64 v[88:89], v[120:121], s[0:1], -v[184:185]
	v_fma_f64 v[104:105], v[114:115], s[18:19], -v[186:187]
	v_fma_f64 v[136:137], v[120:121], s[18:19], v[188:189]
	v_fma_f64 v[140:141], v[114:115], s[18:19], v[186:187]
	v_fma_f64 v[152:153], v[120:121], s[18:19], -v[188:189]
	v_fma_f64 v[156:157], v[122:123], s[18:19], -v[190:191]
	;; [unrolled: 1-line block ×3, first 2 shown]
	v_add_f64_e32 v[94:95], v[106:107], v[94:95]
	v_add_f64_e32 v[106:107], v[238:239], v[138:139]
	v_fma_f64 v[186:187], v[124:125], s[18:19], -v[192:193]
	v_fma_f64 v[138:139], v[122:123], s[16:17], v[198:199]
	v_add_f64_e32 v[56:57], v[62:63], v[56:57]
	v_add_f64_e32 v[58:59], v[64:65], v[58:59]
	v_fma_f64 v[62:63], v[114:115], s[0:1], -v[182:183]
	v_fma_f64 v[64:65], v[120:121], s[0:1], v[184:185]
	v_fma_f64 v[184:185], v[122:123], s[18:19], v[190:191]
	;; [unrolled: 1-line block ×4, first 2 shown]
	v_fma_f64 v[116:117], v[120:121], s[10:11], -v[118:119]
	v_add_f64_e32 v[68:69], v[90:91], v[68:69]
	v_add_f64_e32 v[86:87], v[158:159], v[86:87]
	;; [unrolled: 1-line block ×18, first 2 shown]
	v_fma_f64 v[182:183], v[124:125], s[18:19], v[192:193]
	v_fma_f64 v[92:93], v[124:125], s[0:1], -v[196:197]
	v_fma_f64 v[126:127], v[124:125], s[16:17], v[200:201]
	v_fma_f64 v[142:143], v[124:125], s[16:17], -v[200:201]
	;; [unrolled: 2-line block ×4, first 2 shown]
	v_fma_f64 v[154:155], v[122:123], s[10:11], -v[128:129]
	v_add_f64_e32 v[84:85], v[84:85], v[94:95]
	v_add_f64_e32 v[94:95], v[104:105], v[106:107]
	v_fma_f64 v[144:145], v[122:123], s[14:15], -v[202:203]
	v_add_f64_e32 v[54:55], v[56:57], v[54:55]
	v_add_f64_e32 v[52:53], v[58:59], v[52:53]
	v_fma_f64 v[56:57], v[122:123], s[0:1], -v[194:195]
	v_fma_f64 v[58:59], v[124:125], s[0:1], v[196:197]
	v_fma_f64 v[124:125], v[124:125], s[10:11], -v[66:67]
	v_fma_f64 v[148:149], v[122:123], s[14:15], v[202:203]
	v_fma_f64 v[82:83], v[122:123], s[0:1], v[194:195]
	;; [unrolled: 1-line block ×3, first 2 shown]
	v_add_f64_e32 v[66:67], v[170:171], v[68:69]
	v_add_f64_e32 v[68:69], v[174:175], v[86:87]
	;; [unrolled: 1-line block ×18, first 2 shown]
	v_cmp_gt_u16_e64 s0, 39, v248
                                        ; implicit-def: $vgpr152_vgpr153
	v_add_f64_e32 v[104:105], v[138:139], v[84:85]
	v_add_f64_e32 v[88:89], v[54:55], v[50:51]
	;; [unrolled: 1-line block ×22, first 2 shown]
                                        ; implicit-def: $vgpr148_vgpr149
                                        ; implicit-def: $vgpr156_vgpr157
	v_add_f64_e32 v[74:75], v[88:89], v[46:47]
	v_add_f64_e32 v[76:77], v[130:131], v[44:45]
	v_and_b32_e32 v44, 0xffff, v60
	s_delay_alu instid0(VALU_DEP_1) | instskip(NEXT) | instid1(VALU_DEP_1)
	v_mul_u32_u24_e32 v44, 0x8f, v44
	v_add_lshl_u32 v168, v44, v61, 4
	ds_store_b128 v168, v[48:51] offset:416
	ds_store_b128 v168, v[52:55] offset:624
	;; [unrolled: 1-line block ×9, first 2 shown]
	ds_store_b128 v168, v[74:77]
	ds_store_b128 v168, v[40:43] offset:208
	global_wb scope:SCOPE_SE
	s_wait_dscnt 0x0
	s_barrier_signal -1
	s_barrier_wait -1
	global_inv scope:SCOPE_SE
	ds_load_b128 v[108:111], v255
	ds_load_b128 v[144:147], v255 offset:2288
	ds_load_b128 v[140:143], v255 offset:4576
	ds_load_b128 v[136:139], v255 offset:6864
	ds_load_b128 v[128:131], v255 offset:9152
	ds_load_b128 v[120:123], v255 offset:11440
	ds_load_b128 v[132:135], v255 offset:13728
	ds_load_b128 v[124:127], v255 offset:16016
	s_and_saveexec_b32 s1, s0
	s_cbranch_execz .LBB0_9
; %bb.8:
	ds_load_b128 v[104:107], v255 offset:1664
	ds_load_b128 v[112:115], v255 offset:3952
	;; [unrolled: 1-line block ×8, first 2 shown]
.LBB0_9:
	s_wait_alu 0xfffe
	s_or_b32 exec_lo, exec_lo, s1
	scratch_load_b32 v43, off, off          ; 4-byte Folded Reload
	s_mov_b32 s11, 0x3fe6a09e
	s_wait_loadcnt 0x0
	v_add_nc_u32_e32 v42, 0x68, v43
	v_mad_co_u64_u32 v[40:41], null, 0x70, v43, s[2:3]
	v_subrev_nc_u32_e32 v43, 39, v43
	s_clause 0x1
	global_load_b128 v[68:71], v[40:41], off offset:2096
	global_load_b128 v[84:87], v[40:41], off offset:2080
	v_cndmask_b32_e64 v42, v43, v42, s0
	s_clause 0x2
	global_load_b128 v[76:79], v[40:41], off offset:2128
	global_load_b128 v[0:3], v[40:41], off offset:2112
	global_load_b128 v[88:91], v[40:41], off offset:2160
	v_mul_i32_i24_e32 v43, 0x70, v42
	v_mul_hi_i32_i24_e32 v42, 0x70, v42
	s_delay_alu instid0(VALU_DEP_2) | instskip(SKIP_1) | instid1(VALU_DEP_2)
	v_add_co_u32 v60, s1, s2, v43
	s_wait_alu 0xf1ff
	v_add_co_ci_u32_e64 v61, s1, s3, v42, s1
	s_clause 0x8
	global_load_b128 v[92:95], v[40:41], off offset:2144
	global_load_b128 v[72:75], v[40:41], off offset:2176
	;; [unrolled: 1-line block ×9, first 2 shown]
	s_mov_b32 s2, 0x667f3bcd
	s_mov_b32 s3, 0xbfe6a09e
	s_wait_alu 0xfffe
	s_mov_b32 s10, s2
	s_wait_loadcnt_dscnt 0xd05
	v_mul_f64_e32 v[164:165], v[142:143], v[70:71]
	s_wait_loadcnt 0xc
	v_mul_f64_e32 v[160:161], v[146:147], v[86:87]
	v_mul_f64_e32 v[162:163], v[144:145], v[86:87]
	;; [unrolled: 1-line block ×3, first 2 shown]
	s_wait_loadcnt_dscnt 0xa04
	v_mul_f64_e32 v[169:170], v[138:139], v[2:3]
	v_mul_f64_e32 v[171:172], v[136:137], v[2:3]
	s_wait_dscnt 0x3
	v_mul_f64_e32 v[173:174], v[130:131], v[78:79]
	v_mul_f64_e32 v[175:176], v[128:129], v[78:79]
	s_wait_loadcnt_dscnt 0x901
	v_mul_f64_e32 v[177:178], v[134:135], v[90:91]
	v_mul_f64_e32 v[179:180], v[132:133], v[90:91]
	s_wait_loadcnt 0x8
	v_mul_f64_e32 v[181:182], v[122:123], v[94:95]
	v_mul_f64_e32 v[183:184], v[120:121], v[94:95]
	s_wait_loadcnt_dscnt 0x700
	v_mul_f64_e32 v[185:186], v[126:127], v[74:75]
	v_mul_f64_e32 v[187:188], v[124:125], v[74:75]
	s_wait_loadcnt 0x6
	v_mul_f64_e32 v[189:190], v[114:115], v[50:51]
	v_mul_f64_e32 v[191:192], v[112:113], v[50:51]
	s_wait_loadcnt 0x5
	;; [unrolled: 3-line block ×7, first 2 shown]
	v_mul_f64_e32 v[213:214], v[158:159], v[62:63]
	v_mul_f64_e32 v[215:216], v[156:157], v[62:63]
	s_clause 0x3
	scratch_store_b128 off, v[68:71], off offset:48
	scratch_store_b128 off, v[0:3], off offset:32
	scratch_store_b128 off, v[76:79], off offset:80
	scratch_store_b128 off, v[72:75], off offset:64
	v_fma_f64 v[140:141], v[140:141], v[68:69], -v[164:165]
	v_fma_f64 v[144:145], v[144:145], v[84:85], -v[160:161]
	v_fma_f64 v[146:147], v[146:147], v[84:85], v[162:163]
	v_fma_f64 v[142:143], v[142:143], v[68:69], v[166:167]
	v_fma_f64 v[136:137], v[136:137], v[0:1], -v[169:170]
	v_fma_f64 v[138:139], v[138:139], v[0:1], v[171:172]
	v_fma_f64 v[128:129], v[128:129], v[76:77], -v[173:174]
	;; [unrolled: 2-line block ×12, first 2 shown]
	v_fma_f64 v[158:159], v[158:159], v[60:61], v[215:216]
	v_add_f64_e64 v[128:129], v[108:109], -v[128:129]
	v_add_f64_e64 v[130:131], v[110:111], -v[130:131]
	;; [unrolled: 1-line block ×16, first 2 shown]
	v_fma_f64 v[108:109], v[108:109], 2.0, -v[128:129]
	v_fma_f64 v[110:111], v[110:111], 2.0, -v[130:131]
	;; [unrolled: 1-line block ×8, first 2 shown]
	v_add_f64_e64 v[134:135], v[128:129], -v[134:135]
	v_add_f64_e32 v[132:133], v[130:131], v[132:133]
	v_add_f64_e64 v[126:127], v[120:121], -v[126:127]
	v_add_f64_e32 v[124:125], v[122:123], v[124:125]
	v_fma_f64 v[104:105], v[104:105], 2.0, -v[100:101]
	v_fma_f64 v[106:107], v[106:107], 2.0, -v[102:103]
	;; [unrolled: 1-line block ×6, first 2 shown]
	v_add_f64_e64 v[169:170], v[100:101], -v[154:155]
	v_add_f64_e32 v[171:172], v[102:103], v[152:153]
	v_fma_f64 v[96:97], v[96:97], 2.0, -v[156:157]
	v_fma_f64 v[98:99], v[98:99], 2.0, -v[158:159]
	v_add_f64_e64 v[152:153], v[148:149], -v[158:159]
	v_add_f64_e32 v[154:155], v[150:151], v[156:157]
	v_add_f64_e64 v[156:157], v[108:109], -v[140:141]
	v_add_f64_e64 v[158:159], v[110:111], -v[142:143]
	v_fma_f64 v[173:174], v[128:129], 2.0, -v[134:135]
	v_fma_f64 v[130:131], v[130:131], 2.0, -v[132:133]
	v_add_f64_e64 v[128:129], v[144:145], -v[136:137]
	v_add_f64_e64 v[136:137], v[146:147], -v[138:139]
	v_fma_f64 v[120:121], v[120:121], 2.0, -v[126:127]
	v_fma_f64 v[122:123], v[122:123], 2.0, -v[124:125]
	v_add_f64_e64 v[116:117], v[104:105], -v[116:117]
	v_add_f64_e64 v[138:139], v[106:107], -v[118:119]
	v_fma_f64 v[175:176], v[100:101], 2.0, -v[169:170]
	v_fma_f64 v[177:178], v[102:103], 2.0, -v[171:172]
	v_add_f64_e64 v[96:97], v[112:113], -v[96:97]
	v_add_f64_e64 v[98:99], v[114:115], -v[98:99]
	v_fma_f64 v[118:119], v[148:149], 2.0, -v[152:153]
	v_fma_f64 v[164:165], v[150:151], 2.0, -v[154:155]
	s_wait_alu 0xfffe
	v_fma_f64 v[100:101], v[126:127], s[10:11], v[134:135]
	v_fma_f64 v[102:103], v[124:125], s[10:11], v[132:133]
	;; [unrolled: 1-line block ×4, first 2 shown]
	v_fma_f64 v[108:109], v[108:109], 2.0, -v[156:157]
	v_fma_f64 v[110:111], v[110:111], 2.0, -v[158:159]
	;; [unrolled: 1-line block ×4, first 2 shown]
	v_fma_f64 v[179:180], v[120:121], s[2:3], v[173:174]
	v_fma_f64 v[181:182], v[122:123], s[2:3], v[130:131]
	v_fma_f64 v[183:184], v[104:105], 2.0, -v[116:117]
	v_fma_f64 v[185:186], v[106:107], 2.0, -v[138:139]
	v_add_f64_e64 v[144:145], v[156:157], -v[136:137]
	v_add_f64_e32 v[146:147], v[158:159], v[128:129]
	v_fma_f64 v[106:107], v[112:113], 2.0, -v[96:97]
	v_fma_f64 v[112:113], v[114:115], 2.0, -v[98:99]
	v_fma_f64 v[114:115], v[118:119], s[2:3], v[175:176]
	v_fma_f64 v[187:188], v[164:165], s[2:3], v[177:178]
	v_fma_f64 v[140:141], v[124:125], s[2:3], v[100:101]
	v_fma_f64 v[142:143], v[126:127], s[10:11], v[102:103]
	v_add_f64_e64 v[100:101], v[116:117], -v[98:99]
	v_add_f64_e32 v[102:103], v[138:139], v[96:97]
	v_fma_f64 v[104:105], v[154:155], s[2:3], v[166:167]
	v_add_f64_e64 v[160:161], v[108:109], -v[148:149]
	v_add_f64_e64 v[162:163], v[110:111], -v[150:151]
	v_fma_f64 v[148:149], v[122:123], s[2:3], v[179:180]
	v_fma_f64 v[150:151], v[120:121], s[10:11], v[181:182]
	v_fma_f64 v[156:157], v[156:157], 2.0, -v[144:145]
	v_fma_f64 v[158:159], v[158:159], 2.0, -v[146:147]
	v_add_f64_e64 v[120:121], v[183:184], -v[106:107]
	v_add_f64_e64 v[122:123], v[185:186], -v[112:113]
	v_fma_f64 v[96:97], v[164:165], s[2:3], v[114:115]
	v_fma_f64 v[98:99], v[118:119], s[10:11], v[187:188]
	;; [unrolled: 1-line block ×3, first 2 shown]
	v_fma_f64 v[164:165], v[134:135], 2.0, -v[140:141]
	v_fma_f64 v[166:167], v[132:133], 2.0, -v[142:143]
	;; [unrolled: 1-line block ×9, first 2 shown]
	ds_store_b128 v255, v[116:119]
	ds_store_b128 v255, v[152:155] offset:2288
	ds_store_b128 v255, v[156:159] offset:4576
	;; [unrolled: 1-line block ×7, first 2 shown]
	v_fma_f64 v[136:137], v[183:184], 2.0, -v[120:121]
	v_fma_f64 v[138:139], v[185:186], 2.0, -v[122:123]
	;; [unrolled: 1-line block ×5, first 2 shown]
	s_and_saveexec_b32 s1, s0
	s_cbranch_execz .LBB0_11
; %bb.10:
	ds_store_b128 v255, v[136:139] offset:1664
	ds_store_b128 v255, v[132:135] offset:3952
	;; [unrolled: 1-line block ×8, first 2 shown]
.LBB0_11:
	s_wait_alu 0xfffe
	s_or_b32 exec_lo, exec_lo, s1
	global_wb scope:SCOPE_SE
	s_wait_storecnt_dscnt 0x0
	s_barrier_signal -1
	s_barrier_wait -1
	global_inv scope:SCOPE_SE
	s_and_saveexec_b32 s1, vcc_lo
	s_cbranch_execz .LBB0_13
; %bb.12:
	global_load_b128 v[108:111], v255, s[8:9] offset:18304
	s_add_nc_u64 s[2:3], s[8:9], 0x4780
	s_clause 0x3
	global_load_b128 v[112:115], v255, s[2:3] offset:1408
	global_load_b128 v[169:172], v255, s[2:3] offset:2816
	;; [unrolled: 1-line block ×4, first 2 shown]
	ds_load_b128 v[181:184], v255
	ds_load_b128 v[185:188], v255 offset:1408
	ds_load_b128 v[189:192], v255 offset:16896
	s_wait_loadcnt_dscnt 0x301
	v_mul_f64_e32 v[197:198], v[187:188], v[114:115]
	v_mul_f64_e32 v[193:194], v[183:184], v[110:111]
	v_mul_f64_e32 v[110:111], v[181:182], v[110:111]
	v_mul_f64_e32 v[114:115], v[185:186], v[114:115]
	s_delay_alu instid0(VALU_DEP_4) | instskip(NEXT) | instid1(VALU_DEP_4)
	v_fma_f64 v[185:186], v[185:186], v[112:113], -v[197:198]
	v_fma_f64 v[181:182], v[181:182], v[108:109], -v[193:194]
	s_delay_alu instid0(VALU_DEP_4)
	v_fma_f64 v[183:184], v[183:184], v[108:109], v[110:111]
	ds_load_b128 v[108:111], v255 offset:2816
	ds_load_b128 v[193:196], v255 offset:4224
	v_fma_f64 v[187:188], v[187:188], v[112:113], v[114:115]
	s_wait_loadcnt_dscnt 0x201
	v_mul_f64_e32 v[112:113], v[110:111], v[171:172]
	v_mul_f64_e32 v[114:115], v[108:109], v[171:172]
	s_wait_loadcnt_dscnt 0x100
	v_mul_f64_e32 v[197:198], v[195:196], v[175:176]
	v_mul_f64_e32 v[175:176], v[193:194], v[175:176]
	s_delay_alu instid0(VALU_DEP_4) | instskip(NEXT) | instid1(VALU_DEP_4)
	v_fma_f64 v[108:109], v[108:109], v[169:170], -v[112:113]
	v_fma_f64 v[110:111], v[110:111], v[169:170], v[114:115]
	ds_load_b128 v[169:172], v255 offset:5632
	global_load_b128 v[112:115], v255, s[2:3] offset:7040
	v_fma_f64 v[193:194], v[193:194], v[173:174], -v[197:198]
	v_fma_f64 v[195:196], v[195:196], v[173:174], v[175:176]
	ds_load_b128 v[173:176], v255 offset:7040
	s_wait_loadcnt_dscnt 0x101
	v_mul_f64_e32 v[197:198], v[171:172], v[179:180]
	v_mul_f64_e32 v[179:180], v[169:170], v[179:180]
	s_delay_alu instid0(VALU_DEP_2) | instskip(NEXT) | instid1(VALU_DEP_2)
	v_fma_f64 v[169:170], v[169:170], v[177:178], -v[197:198]
	v_fma_f64 v[171:172], v[171:172], v[177:178], v[179:180]
	global_load_b128 v[177:180], v255, s[2:3] offset:8448
	s_wait_loadcnt_dscnt 0x100
	v_mul_f64_e32 v[197:198], v[175:176], v[114:115]
	v_mul_f64_e32 v[114:115], v[173:174], v[114:115]
	s_delay_alu instid0(VALU_DEP_2) | instskip(NEXT) | instid1(VALU_DEP_2)
	v_fma_f64 v[173:174], v[173:174], v[112:113], -v[197:198]
	v_fma_f64 v[175:176], v[175:176], v[112:113], v[114:115]
	ds_load_b128 v[112:115], v255 offset:8448
	ds_load_b128 v[197:200], v255 offset:9856
	s_wait_loadcnt_dscnt 0x1
	v_mul_f64_e32 v[201:202], v[114:115], v[179:180]
	v_mul_f64_e32 v[179:180], v[112:113], v[179:180]
	s_delay_alu instid0(VALU_DEP_2) | instskip(NEXT) | instid1(VALU_DEP_2)
	v_fma_f64 v[112:113], v[112:113], v[177:178], -v[201:202]
	v_fma_f64 v[114:115], v[114:115], v[177:178], v[179:180]
	s_clause 0x1
	global_load_b128 v[177:180], v255, s[2:3] offset:9856
	global_load_b128 v[201:204], v255, s[2:3] offset:11264
	s_wait_loadcnt_dscnt 0x100
	v_mul_f64_e32 v[205:206], v[199:200], v[179:180]
	v_mul_f64_e32 v[179:180], v[197:198], v[179:180]
	s_delay_alu instid0(VALU_DEP_2) | instskip(NEXT) | instid1(VALU_DEP_2)
	v_fma_f64 v[197:198], v[197:198], v[177:178], -v[205:206]
	v_fma_f64 v[199:200], v[199:200], v[177:178], v[179:180]
	ds_load_b128 v[177:180], v255 offset:11264
	ds_load_b128 v[205:208], v255 offset:12672
	s_wait_loadcnt_dscnt 0x1
	v_mul_f64_e32 v[209:210], v[179:180], v[203:204]
	v_mul_f64_e32 v[203:204], v[177:178], v[203:204]
	s_delay_alu instid0(VALU_DEP_2) | instskip(NEXT) | instid1(VALU_DEP_2)
	v_fma_f64 v[177:178], v[177:178], v[201:202], -v[209:210]
	v_fma_f64 v[179:180], v[179:180], v[201:202], v[203:204]
	s_clause 0x1
	global_load_b128 v[201:204], v255, s[2:3] offset:12672
	;; [unrolled: 17-line block ×3, first 2 shown]
	global_load_b128 v[221:224], v255, s[2:3] offset:16896
	s_wait_loadcnt_dscnt 0x100
	v_mul_f64_e32 v[201:202], v[219:220], v[213:214]
	v_mul_f64_e32 v[215:216], v[217:218], v[213:214]
	s_delay_alu instid0(VALU_DEP_2) | instskip(NEXT) | instid1(VALU_DEP_2)
	v_fma_f64 v[213:214], v[217:218], v[211:212], -v[201:202]
	v_fma_f64 v[215:216], v[219:220], v[211:212], v[215:216]
	s_wait_loadcnt 0x0
	v_mul_f64_e32 v[201:202], v[191:192], v[223:224]
	v_mul_f64_e32 v[211:212], v[189:190], v[223:224]
	s_delay_alu instid0(VALU_DEP_2) | instskip(NEXT) | instid1(VALU_DEP_2)
	v_fma_f64 v[189:190], v[189:190], v[221:222], -v[201:202]
	v_fma_f64 v[191:192], v[191:192], v[221:222], v[211:212]
	ds_store_b128 v255, v[181:184]
	ds_store_b128 v255, v[185:188] offset:1408
	ds_store_b128 v255, v[108:111] offset:2816
	;; [unrolled: 1-line block ×12, first 2 shown]
.LBB0_13:
	s_wait_alu 0xfffe
	s_or_b32 exec_lo, exec_lo, s1
	global_wb scope:SCOPE_SE
	s_wait_dscnt 0x0
	s_barrier_signal -1
	s_barrier_wait -1
	global_inv scope:SCOPE_SE
	s_and_saveexec_b32 s1, vcc_lo
	s_cbranch_execz .LBB0_15
; %bb.14:
	ds_load_b128 v[116:119], v255
	ds_load_b128 v[152:155], v255 offset:1408
	ds_load_b128 v[156:159], v255 offset:2816
	ds_load_b128 v[164:167], v255 offset:4224
	ds_load_b128 v[160:163], v255 offset:5632
	ds_load_b128 v[148:151], v255 offset:7040
	ds_load_b128 v[144:147], v255 offset:8448
	ds_load_b128 v[140:143], v255 offset:9856
	ds_load_b128 v[136:139], v255 offset:11264
	ds_load_b128 v[132:135], v255 offset:12672
	ds_load_b128 v[128:131], v255 offset:14080
	ds_load_b128 v[124:127], v255 offset:15488
	ds_load_b128 v[120:123], v255 offset:16896
.LBB0_15:
	s_wait_alu 0xfffe
	s_or_b32 exec_lo, exec_lo, s1
	s_wait_dscnt 0x0
	v_add_f64_e64 v[223:224], v[154:155], -v[122:123]
	s_mov_b32 s30, 0x4267c47c
	s_mov_b32 s31, 0xbfddbe06
	v_add_f64_e32 v[217:218], v[120:121], v[152:153]
	v_add_f64_e64 v[183:184], v[158:159], -v[126:127]
	s_mov_b32 s2, 0xe00740e9
	s_mov_b32 s14, 0x42a4c3d2
	;; [unrolled: 1-line block ×4, first 2 shown]
	v_add_f64_e32 v[169:170], v[156:157], v[124:125]
	v_add_f64_e32 v[241:242], v[122:123], v[154:155]
	s_mov_b32 s10, 0x1ea71119
	s_mov_b32 s11, 0x3fe22d96
	v_add_f64_e64 v[235:236], v[152:153], -v[120:121]
	v_add_f64_e32 v[181:182], v[158:159], v[126:127]
	v_add_f64_e64 v[173:174], v[156:157], -v[124:125]
	v_add_f64_e64 v[201:202], v[166:167], -v[130:131]
	s_mov_b32 s18, 0x66966769
	s_mov_b32 s19, 0xbfefc445
	v_add_f64_e32 v[177:178], v[128:129], v[164:165]
	v_add_f64_e32 v[193:194], v[130:131], v[166:167]
	s_mov_b32 s16, 0xebaa3ed8
	s_mov_b32 s17, 0x3fbedb7d
	v_add_f64_e64 v[189:190], v[164:165], -v[128:129]
	v_add_f64_e64 v[225:226], v[162:163], -v[134:135]
	s_mov_b32 s35, 0xbfedeba7
	s_mov_b32 s34, 0x2ef20147
	v_add_f64_e32 v[185:186], v[132:133], v[160:161]
	v_add_f64_e32 v[215:216], v[134:135], v[162:163]
	s_mov_b32 s20, 0xb2365da1
	s_mov_b32 s21, 0xbfd6b1d8
	v_add_f64_e64 v[231:232], v[160:161], -v[132:133]
	v_add_f64_e64 v[229:230], v[150:151], -v[138:139]
	s_mov_b32 s36, 0x24c2f84
	s_mov_b32 s37, 0x3fe5384d
	;; [unrolled: 1-line block ×3, first 2 shown]
	s_wait_alu 0xfffe
	s_mov_b32 s24, s36
	v_add_f64_e32 v[197:198], v[148:149], v[136:137]
	v_mul_f64_e32 v[219:220], s[30:31], v[223:224]
	v_add_f64_e32 v[221:222], v[150:151], v[138:139]
	s_mov_b32 s22, 0xd0032e0c
	s_mov_b32 s23, 0xbfe7f3cc
	v_mul_f64_e32 v[213:214], s[14:15], v[183:184]
	v_add_f64_e64 v[207:208], v[148:149], -v[136:137]
	v_add_f64_e64 v[233:234], v[146:147], -v[142:143]
	s_mov_b32 s28, 0x4bc48dbf
	s_mov_b32 s29, 0xbfcea1e5
	v_add_f64_e32 v[203:204], v[140:141], v[144:145]
	v_mul_f64_e32 v[237:238], s[2:3], v[241:242]
	v_add_f64_e32 v[227:228], v[142:143], v[146:147]
	s_mov_b32 s26, 0x93053d00
	s_mov_b32 s27, 0xbfef11f4
	v_mul_f64_e32 v[205:206], s[10:11], v[181:182]
	v_add_f64_e64 v[211:212], v[144:145], -v[140:141]
	v_mul_f64_e32 v[2:3], s[18:19], v[201:202]
	v_mul_f64_e32 v[187:188], s[14:15], v[223:224]
	;; [unrolled: 1-line block ×6, first 2 shown]
	s_wait_alu 0xfffe
	v_mul_f64_e32 v[245:246], s[28:29], v[201:202]
	s_mov_b32 s41, 0x3fefc445
	v_mul_f64_e32 v[0:1], s[34:35], v[225:226]
	v_mul_f64_e32 v[247:248], s[36:37], v[225:226]
	s_mov_b32 s40, s18
	s_mov_b32 s38, s30
	v_mul_f64_e32 v[68:69], s[20:21], v[215:216]
	v_mul_f64_e32 v[253:254], s[22:23], v[215:216]
	global_wb scope:SCOPE_SE
	s_barrier_signal -1
	v_mul_f64_e32 v[74:75], s[24:25], v[229:230]
	s_wait_alu 0xfffe
	v_mul_f64_e32 v[249:250], s[40:41], v[229:230]
	s_barrier_wait -1
	global_inv scope:SCOPE_SE
	v_fma_f64 v[108:109], v[217:218], s[2:3], -v[219:220]
	v_mul_f64_e32 v[78:79], s[22:23], v[221:222]
	v_fma_f64 v[110:111], v[169:170], s[10:11], -v[213:214]
	v_mul_f64_e32 v[80:81], s[28:29], v[233:234]
	v_mul_f64_e32 v[251:252], s[38:39], v[233:234]
	v_mul_f64_e32 v[76:77], s[26:27], v[227:228]
	v_fma_f64 v[112:113], v[173:174], s[14:15], v[205:206]
	v_fma_f64 v[114:115], v[169:170], s[20:21], -v[239:240]
	v_fma_f64 v[171:172], v[173:174], s[34:35], v[243:244]
	v_add_f64_e32 v[108:109], v[116:117], v[108:109]
	s_delay_alu instid0(VALU_DEP_1) | instskip(SKIP_1) | instid1(VALU_DEP_1)
	v_add_f64_e32 v[108:109], v[110:111], v[108:109]
	v_fma_f64 v[110:111], v[235:236], s[30:31], v[237:238]
	v_add_f64_e32 v[110:111], v[118:119], v[110:111]
	s_delay_alu instid0(VALU_DEP_1) | instskip(SKIP_1) | instid1(VALU_DEP_1)
	v_add_f64_e32 v[110:111], v[112:113], v[110:111]
	v_fma_f64 v[112:113], v[177:178], s[16:17], -v[2:3]
	v_add_f64_e32 v[108:109], v[112:113], v[108:109]
	v_fma_f64 v[112:113], v[189:190], s[18:19], v[70:71]
	s_delay_alu instid0(VALU_DEP_1) | instskip(SKIP_1) | instid1(VALU_DEP_1)
	v_add_f64_e32 v[110:111], v[112:113], v[110:111]
	v_fma_f64 v[112:113], v[185:186], s[20:21], -v[0:1]
	v_add_f64_e32 v[108:109], v[112:113], v[108:109]
	v_fma_f64 v[112:113], v[231:232], s[34:35], v[68:69]
	;; [unrolled: 5-line block ×4, first 2 shown]
	s_delay_alu instid0(VALU_DEP_1) | instskip(SKIP_1) | instid1(VALU_DEP_1)
	v_add_f64_e32 v[110:111], v[112:113], v[110:111]
	v_fma_f64 v[112:113], v[217:218], s[10:11], -v[187:188]
	v_add_f64_e32 v[112:113], v[116:117], v[112:113]
	s_delay_alu instid0(VALU_DEP_1) | instskip(SKIP_1) | instid1(VALU_DEP_1)
	v_add_f64_e32 v[112:113], v[114:115], v[112:113]
	v_fma_f64 v[114:115], v[235:236], s[14:15], v[191:192]
	v_add_f64_e32 v[114:115], v[118:119], v[114:115]
	s_delay_alu instid0(VALU_DEP_1) | instskip(SKIP_1) | instid1(VALU_DEP_1)
	v_add_f64_e32 v[114:115], v[171:172], v[114:115]
	v_fma_f64 v[171:172], v[177:178], s[26:27], -v[245:246]
	v_add_f64_e32 v[112:113], v[171:172], v[112:113]
	v_mul_f64_e32 v[171:172], s[26:27], v[193:194]
	s_delay_alu instid0(VALU_DEP_1) | instskip(NEXT) | instid1(VALU_DEP_1)
	v_fma_f64 v[175:176], v[189:190], s[28:29], v[171:172]
	v_add_f64_e32 v[114:115], v[175:176], v[114:115]
	v_fma_f64 v[175:176], v[185:186], s[22:23], -v[247:248]
	s_delay_alu instid0(VALU_DEP_1) | instskip(SKIP_1) | instid1(VALU_DEP_1)
	v_add_f64_e32 v[112:113], v[175:176], v[112:113]
	v_fma_f64 v[175:176], v[231:232], s[36:37], v[253:254]
	v_add_f64_e32 v[114:115], v[175:176], v[114:115]
	v_fma_f64 v[175:176], v[197:198], s[16:17], -v[249:250]
	s_delay_alu instid0(VALU_DEP_1) | instskip(SKIP_1) | instid1(VALU_DEP_1)
	v_add_f64_e32 v[112:113], v[175:176], v[112:113]
	v_mul_f64_e32 v[175:176], s[16:17], v[221:222]
	v_fma_f64 v[179:180], v[207:208], s[40:41], v[175:176]
	s_delay_alu instid0(VALU_DEP_1) | instskip(SKIP_1) | instid1(VALU_DEP_1)
	v_add_f64_e32 v[114:115], v[179:180], v[114:115]
	v_fma_f64 v[179:180], v[203:204], s[2:3], -v[251:252]
	v_add_f64_e32 v[112:113], v[179:180], v[112:113]
	v_mul_f64_e32 v[179:180], s[2:3], v[227:228]
	s_delay_alu instid0(VALU_DEP_1) | instskip(NEXT) | instid1(VALU_DEP_1)
	v_fma_f64 v[195:196], v[211:212], s[38:39], v[179:180]
	v_add_f64_e32 v[114:115], v[195:196], v[114:115]
	s_and_saveexec_b32 s1, vcc_lo
	s_cbranch_execz .LBB0_17
; %bb.16:
	v_add_f64_e32 v[152:153], v[116:117], v[152:153]
	v_add_f64_e32 v[154:155], v[118:119], v[154:155]
	s_mov_b32 s43, 0x3fcea1e5
	s_mov_b32 s42, s28
	v_mul_f64_e32 v[199:200], s[36:37], v[173:174]
	v_dual_mov_b32 v73, v1 :: v_dual_mov_b32 v72, v0
	v_dual_mov_b32 v0, v205 :: v_dual_mov_b32 v1, v206
	v_add_f64_e32 v[152:153], v[156:157], v[152:153]
	v_add_f64_e32 v[154:155], v[158:159], v[154:155]
	s_delay_alu instid0(VALU_DEP_2) | instskip(NEXT) | instid1(VALU_DEP_2)
	v_add_f64_e32 v[152:153], v[164:165], v[152:153]
	v_add_f64_e32 v[154:155], v[166:167], v[154:155]
	s_delay_alu instid0(VALU_DEP_2) | instskip(NEXT) | instid1(VALU_DEP_2)
	v_add_f64_e32 v[152:153], v[160:161], v[152:153]
	v_add_f64_e32 v[154:155], v[162:163], v[154:155]
	v_mul_f64_e32 v[162:163], s[2:3], v[217:218]
	s_delay_alu instid0(VALU_DEP_3) | instskip(NEXT) | instid1(VALU_DEP_3)
	v_add_f64_e32 v[148:149], v[148:149], v[152:153]
	v_add_f64_e32 v[150:151], v[150:151], v[154:155]
	v_mul_f64_e32 v[152:153], s[18:19], v[223:224]
	s_delay_alu instid0(VALU_DEP_4) | instskip(NEXT) | instid1(VALU_DEP_4)
	v_add_f64_e32 v[162:163], v[162:163], v[219:220]
	v_add_f64_e32 v[144:145], v[144:145], v[148:149]
	s_delay_alu instid0(VALU_DEP_4)
	v_add_f64_e32 v[146:147], v[146:147], v[150:151]
	v_mul_f64_e32 v[148:149], s[24:25], v[223:224]
	v_mul_f64_e32 v[150:151], s[34:35], v[223:224]
	v_fma_f64 v[160:161], v[217:218], s[16:17], -v[152:153]
	v_fma_f64 v[152:153], v[217:218], s[16:17], v[152:153]
	v_add_f64_e32 v[162:163], v[116:117], v[162:163]
	v_add_f64_e32 v[140:141], v[140:141], v[144:145]
	;; [unrolled: 1-line block ×3, first 2 shown]
	v_mul_f64_e32 v[146:147], s[28:29], v[223:224]
	v_fma_f64 v[156:157], v[217:218], s[22:23], -v[148:149]
	v_fma_f64 v[148:149], v[217:218], s[22:23], v[148:149]
	v_fma_f64 v[158:159], v[217:218], s[20:21], -v[150:151]
	v_fma_f64 v[150:151], v[217:218], s[20:21], v[150:151]
	v_mul_f64_e32 v[144:145], s[30:31], v[235:236]
	v_add_f64_e32 v[160:161], v[116:117], v[160:161]
	s_mov_b32 s31, 0x3fea55e2
	s_mov_b32 s30, s14
	v_mul_f64_e32 v[223:224], s[40:41], v[211:212]
	s_wait_alu 0xfffe
	v_mul_f64_e32 v[209:210], s[30:31], v[211:212]
	v_add_f64_e32 v[136:137], v[136:137], v[140:141]
	v_add_f64_e32 v[138:139], v[138:139], v[142:143]
	v_mul_f64_e32 v[140:141], s[14:15], v[235:236]
	v_mul_f64_e32 v[142:143], s[10:11], v[217:218]
	v_fma_f64 v[154:155], v[217:218], s[26:27], -v[146:147]
	v_fma_f64 v[146:147], v[217:218], s[26:27], v[146:147]
	v_add_f64_e32 v[156:157], v[116:117], v[156:157]
	v_add_f64_e32 v[148:149], v[116:117], v[148:149]
	;; [unrolled: 1-line block ×4, first 2 shown]
	v_add_f64_e64 v[144:145], v[237:238], -v[144:145]
	v_mul_f64_e32 v[237:238], s[34:35], v[233:234]
	v_add_f64_e32 v[132:133], v[132:133], v[136:137]
	v_add_f64_e32 v[134:135], v[134:135], v[138:139]
	v_mul_f64_e32 v[136:137], s[18:19], v[235:236]
	v_add_f64_e64 v[140:141], v[191:192], -v[140:141]
	v_add_f64_e32 v[142:143], v[142:143], v[187:188]
	v_add_f64_e32 v[154:155], v[116:117], v[154:155]
	;; [unrolled: 1-line block ×6, first 2 shown]
	v_mul_f64_e32 v[132:133], s[34:35], v[235:236]
	v_fma_f64 v[138:139], v[241:242], s[16:17], v[136:137]
	v_fma_f64 v[136:137], v[241:242], s[16:17], -v[136:137]
	v_add_f64_e32 v[124:125], v[124:125], v[128:129]
	v_mul_f64_e32 v[128:129], s[24:25], v[235:236]
	v_add_f64_e32 v[126:127], v[126:127], v[130:131]
	v_fma_f64 v[134:135], v[241:242], s[20:21], v[132:133]
	v_fma_f64 v[132:133], v[241:242], s[20:21], -v[132:133]
	v_add_f64_e32 v[191:192], v[118:119], v[138:139]
	v_add_f64_e32 v[138:139], v[116:117], v[152:153]
	;; [unrolled: 1-line block ×4, first 2 shown]
	v_mul_f64_e32 v[124:125], s[28:29], v[235:236]
	v_fma_f64 v[130:131], v[241:242], s[22:23], v[128:129]
	v_fma_f64 v[128:129], v[241:242], s[22:23], -v[128:129]
	v_add_f64_e32 v[122:123], v[122:123], v[126:127]
	v_add_f64_e32 v[166:167], v[118:119], v[134:135]
	;; [unrolled: 1-line block ×5, first 2 shown]
	v_mul_f64_e32 v[140:141], s[24:25], v[189:190]
	v_mul_f64_e32 v[235:236], s[40:41], v[233:234]
	v_fma_f64 v[126:127], v[241:242], s[26:27], v[124:125]
	v_fma_f64 v[124:125], v[241:242], s[26:27], -v[124:125]
	v_add_f64_e32 v[164:165], v[118:119], v[128:129]
	v_mul_f64_e32 v[128:129], s[38:39], v[173:174]
	v_add_f64_e32 v[130:131], v[118:119], v[130:131]
	v_mul_f64_e32 v[241:242], s[20:21], v[169:170]
	v_fma_f64 v[142:143], v[193:194], s[22:23], v[140:141]
	v_add_f64_e32 v[126:127], v[118:119], v[126:127]
	v_add_f64_e32 v[124:125], v[118:119], v[124:125]
	v_fma_f64 v[116:117], v[181:182], s[2:3], v[128:129]
	v_fma_f64 v[128:129], v[181:182], s[2:3], -v[128:129]
	v_add_f64_e32 v[239:240], v[241:242], v[239:240]
	v_mul_f64_e32 v[241:242], s[36:37], v[231:232]
	s_delay_alu instid0(VALU_DEP_4)
	v_add_f64_e32 v[116:117], v[116:117], v[126:127]
	v_mul_f64_e32 v[126:127], s[38:39], v[183:184]
	v_add_f64_e32 v[124:125], v[128:129], v[124:125]
	v_fma_f64 v[128:129], v[193:194], s[22:23], -v[140:141]
	v_fma_f64 v[140:141], v[203:204], s[16:17], v[235:236]
	v_add_f64_e32 v[134:135], v[239:240], v[134:135]
	v_add_f64_e64 v[241:242], v[253:254], -v[241:242]
	v_mul_f64_e32 v[253:254], s[24:25], v[233:234]
	v_mul_f64_e32 v[233:234], s[30:31], v[233:234]
	v_add_f64_e32 v[116:117], v[142:143], v[116:117]
	v_fma_f64 v[118:119], v[169:170], s[2:3], -v[126:127]
	v_mul_f64_e32 v[142:143], s[24:25], v[201:202]
	v_fma_f64 v[126:127], v[169:170], s[2:3], v[126:127]
	v_add_f64_e32 v[124:125], v[128:129], v[124:125]
	s_delay_alu instid0(VALU_DEP_4) | instskip(NEXT) | instid1(VALU_DEP_4)
	v_add_f64_e32 v[118:119], v[118:119], v[154:155]
	v_fma_f64 v[144:145], v[177:178], s[22:23], -v[142:143]
	s_delay_alu instid0(VALU_DEP_4)
	v_add_f64_e32 v[126:127], v[126:127], v[146:147]
	v_fma_f64 v[128:129], v[177:178], s[22:23], v[142:143]
	v_mul_f64_e32 v[146:147], s[40:41], v[183:184]
	v_mul_f64_e32 v[142:143], s[34:35], v[173:174]
	v_add_f64_e32 v[118:119], v[144:145], v[118:119]
	v_mul_f64_e32 v[144:145], s[30:31], v[231:232]
	v_add_f64_e32 v[126:127], v[128:129], v[126:127]
	s_delay_alu instid0(VALU_DEP_4) | instskip(SKIP_1) | instid1(VALU_DEP_4)
	v_add_f64_e64 v[142:143], v[243:244], -v[142:143]
	v_mul_f64_e32 v[243:244], s[22:23], v[185:186]
	v_fma_f64 v[152:153], v[215:216], s[10:11], v[144:145]
	v_fma_f64 v[128:129], v[215:216], s[10:11], -v[144:145]
	v_mul_f64_e32 v[144:145], s[40:41], v[173:174]
	v_add_f64_e32 v[132:133], v[142:143], v[132:133]
	v_add_f64_e32 v[243:244], v[243:244], v[247:248]
	v_mul_f64_e32 v[142:143], s[16:17], v[197:198]
	v_mul_f64_e32 v[247:248], s[14:15], v[207:208]
	v_add_f64_e32 v[116:117], v[152:153], v[116:117]
	v_mul_f64_e32 v[152:153], s[30:31], v[225:226]
	v_add_f64_e32 v[124:125], v[128:129], v[124:125]
	v_add_f64_e32 v[142:143], v[142:143], v[249:250]
	v_mul_f64_e32 v[249:250], s[14:15], v[229:230]
	s_delay_alu instid0(VALU_DEP_4) | instskip(SKIP_2) | instid1(VALU_DEP_3)
	v_fma_f64 v[154:155], v[185:186], s[10:11], -v[152:153]
	v_fma_f64 v[128:129], v[185:186], s[10:11], v[152:153]
	v_mul_f64_e32 v[152:153], s[14:15], v[189:190]
	v_add_f64_e32 v[118:119], v[154:155], v[118:119]
	v_mul_f64_e32 v[154:155], s[34:35], v[207:208]
	s_delay_alu instid0(VALU_DEP_4) | instskip(NEXT) | instid1(VALU_DEP_2)
	v_add_f64_e32 v[126:127], v[128:129], v[126:127]
	v_fma_f64 v[217:218], v[221:222], s[20:21], v[154:155]
	v_fma_f64 v[128:129], v[221:222], s[20:21], -v[154:155]
	v_mul_f64_e32 v[154:155], s[14:15], v[201:202]
	s_delay_alu instid0(VALU_DEP_3) | instskip(SKIP_1) | instid1(VALU_DEP_4)
	v_add_f64_e32 v[116:117], v[217:218], v[116:117]
	v_mul_f64_e32 v[217:218], s[34:35], v[229:230]
	v_add_f64_e32 v[124:125], v[128:129], v[124:125]
	s_delay_alu instid0(VALU_DEP_2) | instskip(SKIP_2) | instid1(VALU_DEP_3)
	v_fma_f64 v[128:129], v[197:198], s[20:21], v[217:218]
	v_fma_f64 v[219:220], v[197:198], s[20:21], -v[217:218]
	v_mul_f64_e32 v[217:218], s[42:43], v[225:226]
	v_add_f64_e32 v[128:129], v[128:129], v[126:127]
	v_fma_f64 v[126:127], v[227:228], s[16:17], -v[223:224]
	s_delay_alu instid0(VALU_DEP_4) | instskip(SKIP_2) | instid1(VALU_DEP_4)
	v_add_f64_e32 v[219:220], v[219:220], v[118:119]
	v_fma_f64 v[118:119], v[227:228], s[16:17], v[223:224]
	v_mul_f64_e32 v[223:224], s[38:39], v[229:230]
	v_add_f64_e32 v[126:127], v[126:127], v[124:125]
	v_add_f64_e32 v[124:125], v[140:141], v[128:129]
	v_fma_f64 v[128:129], v[181:182], s[16:17], v[144:145]
	v_fma_f64 v[140:141], v[193:194], s[10:11], v[152:153]
	v_add_f64_e32 v[118:119], v[118:119], v[116:117]
	v_fma_f64 v[116:117], v[203:204], s[16:17], -v[235:236]
	v_mul_f64_e32 v[235:236], s[34:35], v[211:212]
	v_fma_f64 v[144:145], v[181:182], s[16:17], -v[144:145]
	v_add_f64_e32 v[128:129], v[128:129], v[130:131]
	v_fma_f64 v[130:131], v[169:170], s[16:17], -v[146:147]
	v_fma_f64 v[146:147], v[169:170], s[16:17], v[146:147]
	v_add_f64_e32 v[116:117], v[116:117], v[219:220]
	v_mul_f64_e32 v[219:220], s[38:39], v[207:208]
	v_add_f64_e32 v[144:145], v[144:145], v[164:165]
	v_add_f64_e32 v[128:129], v[140:141], v[128:129]
	;; [unrolled: 1-line block ×3, first 2 shown]
	v_fma_f64 v[140:141], v[177:178], s[10:11], -v[154:155]
	v_mul_f64_e32 v[156:157], s[42:43], v[231:232]
	v_add_f64_e32 v[146:147], v[146:147], v[148:149]
	v_fma_f64 v[148:149], v[193:194], s[10:11], -v[152:153]
	v_fma_f64 v[152:153], v[203:204], s[20:21], v[237:238]
	v_add_f64_e32 v[130:131], v[140:141], v[130:131]
	v_fma_f64 v[140:141], v[215:216], s[26:27], v[156:157]
	s_delay_alu instid0(VALU_DEP_4) | instskip(SKIP_2) | instid1(VALU_DEP_4)
	v_add_f64_e32 v[144:145], v[148:149], v[144:145]
	v_fma_f64 v[148:149], v[177:178], s[10:11], v[154:155]
	v_fma_f64 v[154:155], v[203:204], s[10:11], -v[233:234]
	v_add_f64_e32 v[128:129], v[140:141], v[128:129]
	v_fma_f64 v[140:141], v[185:186], s[26:27], -v[217:218]
	s_delay_alu instid0(VALU_DEP_4) | instskip(SKIP_2) | instid1(VALU_DEP_4)
	v_add_f64_e32 v[146:147], v[148:149], v[146:147]
	v_fma_f64 v[148:149], v[215:216], s[26:27], -v[156:157]
	v_fma_f64 v[156:157], v[221:222], s[10:11], v[247:248]
	v_add_f64_e32 v[130:131], v[140:141], v[130:131]
	v_fma_f64 v[140:141], v[221:222], s[2:3], v[219:220]
	s_delay_alu instid0(VALU_DEP_4) | instskip(SKIP_1) | instid1(VALU_DEP_3)
	v_add_f64_e32 v[144:145], v[148:149], v[144:145]
	v_fma_f64 v[148:149], v[185:186], s[26:27], v[217:218]
	v_add_f64_e32 v[128:129], v[140:141], v[128:129]
	v_fma_f64 v[140:141], v[197:198], s[2:3], -v[223:224]
	s_delay_alu instid0(VALU_DEP_3) | instskip(SKIP_1) | instid1(VALU_DEP_3)
	v_add_f64_e32 v[146:147], v[148:149], v[146:147]
	v_fma_f64 v[148:149], v[221:222], s[2:3], -v[219:220]
	v_add_f64_e32 v[140:141], v[140:141], v[130:131]
	v_fma_f64 v[130:131], v[227:228], s[20:21], v[235:236]
	s_delay_alu instid0(VALU_DEP_3) | instskip(SKIP_1) | instid1(VALU_DEP_3)
	v_add_f64_e32 v[144:145], v[148:149], v[144:145]
	v_fma_f64 v[148:149], v[197:198], s[2:3], v[223:224]
	v_add_f64_e32 v[130:131], v[130:131], v[128:129]
	v_fma_f64 v[128:129], v[203:204], s[20:21], -v[237:238]
	s_delay_alu instid0(VALU_DEP_3) | instskip(SKIP_1) | instid1(VALU_DEP_3)
	v_add_f64_e32 v[148:149], v[148:149], v[146:147]
	v_fma_f64 v[146:147], v[227:228], s[20:21], -v[235:236]
	v_add_f64_e32 v[128:129], v[128:129], v[140:141]
	v_mul_f64_e32 v[140:141], s[28:29], v[189:190]
	s_delay_alu instid0(VALU_DEP_3) | instskip(SKIP_2) | instid1(VALU_DEP_4)
	v_add_f64_e32 v[146:147], v[146:147], v[144:145]
	v_add_f64_e32 v[144:145], v[152:153], v[148:149]
	v_fma_f64 v[148:149], v[181:182], s[22:23], v[199:200]
	v_add_f64_e64 v[140:141], v[171:172], -v[140:141]
	v_mul_f64_e32 v[171:172], s[26:27], v[177:178]
	s_delay_alu instid0(VALU_DEP_3) | instskip(NEXT) | instid1(VALU_DEP_3)
	v_add_f64_e32 v[148:149], v[148:149], v[166:167]
	v_add_f64_e32 v[132:133], v[140:141], v[132:133]
	s_delay_alu instid0(VALU_DEP_3) | instskip(SKIP_2) | instid1(VALU_DEP_4)
	v_add_f64_e32 v[171:172], v[171:172], v[245:246]
	v_mul_f64_e32 v[245:246], s[40:41], v[207:208]
	v_mul_f64_e32 v[140:141], s[38:39], v[211:212]
	v_add_f64_e32 v[132:133], v[241:242], v[132:133]
	s_delay_alu instid0(VALU_DEP_4) | instskip(NEXT) | instid1(VALU_DEP_4)
	v_add_f64_e32 v[134:135], v[171:172], v[134:135]
	v_add_f64_e64 v[175:176], v[175:176], -v[245:246]
	v_mul_f64_e32 v[171:172], s[2:3], v[203:204]
	v_add_f64_e64 v[140:141], v[179:180], -v[140:141]
	v_mul_f64_e32 v[179:180], s[34:35], v[231:232]
	s_mov_b32 s35, 0x3fedeba7
	v_mul_f64_e32 v[245:246], s[38:39], v[225:226]
	s_wait_alu 0xfffe
	v_mul_f64_e32 v[239:240], s[34:35], v[189:190]
	v_mul_f64_e32 v[241:242], s[34:35], v[201:202]
	;; [unrolled: 1-line block ×3, first 2 shown]
	v_add_f64_e32 v[134:135], v[243:244], v[134:135]
	v_add_f64_e32 v[132:133], v[175:176], v[132:133]
	;; [unrolled: 1-line block ×3, first 2 shown]
	v_mul_f64_e32 v[175:176], s[28:29], v[183:184]
	v_mul_f64_e32 v[243:244], s[38:39], v[231:232]
	v_mul_f64_e32 v[251:252], s[24:25], v[211:212]
	v_mul_f64_e32 v[183:184], s[36:37], v[183:184]
	v_fma_f64 v[164:165], v[193:194], s[20:21], v[239:240]
	v_add_f64_e32 v[142:143], v[142:143], v[134:135]
	v_add_f64_e32 v[134:135], v[140:141], v[132:133]
	v_fma_f64 v[166:167], v[169:170], s[26:27], -v[175:176]
	v_fma_f64 v[152:153], v[169:170], s[22:23], -v[183:184]
	s_delay_alu instid0(VALU_DEP_4)
	v_add_f64_e32 v[132:133], v[171:172], v[142:143]
	v_mul_f64_e32 v[171:172], s[28:29], v[173:174]
	v_fma_f64 v[142:143], v[169:170], s[22:23], v[183:184]
	v_add_f64_e32 v[160:161], v[166:167], v[160:161]
	v_add_f64_e64 v[166:167], v[68:69], -v[179:180]
	v_add_f64_e32 v[152:153], v[152:153], v[158:159]
	v_fma_f64 v[158:159], v[227:228], s[22:23], v[251:252]
	v_fma_f64 v[140:141], v[181:182], s[26:27], -v[171:172]
	v_add_f64_e32 v[142:143], v[142:143], v[150:151]
	v_mul_f64_e32 v[150:151], s[38:39], v[189:190]
	s_delay_alu instid0(VALU_DEP_3) | instskip(SKIP_1) | instid1(VALU_DEP_1)
	v_add_f64_e32 v[136:137], v[140:141], v[136:137]
	v_fma_f64 v[140:141], v[169:170], s[26:27], v[175:176]
	v_add_f64_e32 v[138:139], v[140:141], v[138:139]
	v_fma_f64 v[140:141], v[193:194], s[20:21], -v[239:240]
	s_delay_alu instid0(VALU_DEP_1) | instskip(SKIP_1) | instid1(VALU_DEP_1)
	v_add_f64_e32 v[136:137], v[140:141], v[136:137]
	v_fma_f64 v[140:141], v[177:178], s[20:21], v[241:242]
	v_add_f64_e32 v[138:139], v[140:141], v[138:139]
	v_fma_f64 v[140:141], v[215:216], s[2:3], -v[243:244]
	s_delay_alu instid0(VALU_DEP_1) | instskip(SKIP_1) | instid1(VALU_DEP_1)
	;; [unrolled: 5-line block ×4, first 2 shown]
	v_add_f64_e32 v[138:139], v[138:139], v[136:137]
	v_fma_f64 v[136:137], v[203:204], s[22:23], v[253:254]
	v_add_f64_e32 v[136:137], v[136:137], v[140:141]
	v_fma_f64 v[140:141], v[181:182], s[22:23], -v[199:200]
	s_delay_alu instid0(VALU_DEP_1) | instskip(SKIP_2) | instid1(VALU_DEP_2)
	v_add_f64_e32 v[140:141], v[140:141], v[187:188]
	v_fma_f64 v[187:188], v[193:194], s[2:3], -v[150:151]
	v_fma_f64 v[150:151], v[193:194], s[2:3], v[150:151]
	v_add_f64_e32 v[140:141], v[187:188], v[140:141]
	v_mul_f64_e32 v[187:188], s[38:39], v[201:202]
	s_delay_alu instid0(VALU_DEP_3) | instskip(NEXT) | instid1(VALU_DEP_2)
	v_add_f64_e32 v[148:149], v[150:151], v[148:149]
	v_fma_f64 v[201:202], v[177:178], s[2:3], v[187:188]
	v_fma_f64 v[150:151], v[177:178], s[2:3], -v[187:188]
	s_delay_alu instid0(VALU_DEP_2) | instskip(SKIP_1) | instid1(VALU_DEP_3)
	v_add_f64_e32 v[142:143], v[201:202], v[142:143]
	v_mul_f64_e32 v[201:202], s[18:19], v[231:232]
	v_add_f64_e32 v[150:151], v[150:151], v[152:153]
	s_delay_alu instid0(VALU_DEP_2) | instskip(SKIP_1) | instid1(VALU_DEP_2)
	v_fma_f64 v[231:232], v[215:216], s[16:17], -v[201:202]
	v_fma_f64 v[152:153], v[215:216], s[16:17], v[201:202]
	v_add_f64_e32 v[140:141], v[231:232], v[140:141]
	v_fma_f64 v[231:232], v[185:186], s[16:17], v[225:226]
	s_delay_alu instid0(VALU_DEP_3) | instskip(SKIP_1) | instid1(VALU_DEP_3)
	v_add_f64_e32 v[148:149], v[152:153], v[148:149]
	v_fma_f64 v[152:153], v[185:186], s[16:17], -v[225:226]
	v_add_f64_e32 v[142:143], v[231:232], v[142:143]
	v_mul_f64_e32 v[231:232], s[42:43], v[207:208]
	s_delay_alu instid0(VALU_DEP_3) | instskip(NEXT) | instid1(VALU_DEP_2)
	v_add_f64_e32 v[150:151], v[152:153], v[150:151]
	v_fma_f64 v[205:206], v[221:222], s[26:27], -v[231:232]
	v_fma_f64 v[152:153], v[221:222], s[26:27], v[231:232]
	s_delay_alu instid0(VALU_DEP_2) | instskip(SKIP_1) | instid1(VALU_DEP_3)
	v_add_f64_e32 v[140:141], v[205:206], v[140:141]
	v_mul_f64_e32 v[205:206], s[42:43], v[229:230]
	v_add_f64_e32 v[148:149], v[152:153], v[148:149]
	s_delay_alu instid0(VALU_DEP_2) | instskip(SKIP_1) | instid1(VALU_DEP_2)
	v_fma_f64 v[152:153], v[197:198], s[26:27], -v[205:206]
	v_fma_f64 v[229:230], v[197:198], s[26:27], v[205:206]
	v_add_f64_e32 v[152:153], v[152:153], v[150:151]
	v_fma_f64 v[150:151], v[227:228], s[10:11], v[209:210]
	s_delay_alu instid0(VALU_DEP_3) | instskip(SKIP_1) | instid1(VALU_DEP_3)
	v_add_f64_e32 v[229:230], v[229:230], v[142:143]
	v_fma_f64 v[142:143], v[227:228], s[10:11], -v[209:210]
	v_add_f64_e32 v[150:151], v[150:151], v[148:149]
	v_add_f64_e32 v[148:149], v[154:155], v[152:153]
	v_fma_f64 v[152:153], v[181:182], s[26:27], v[171:172]
	v_fma_f64 v[154:155], v[215:216], s[2:3], v[243:244]
	v_mul_f64_e32 v[171:172], s[24:25], v[207:208]
	v_add_f64_e32 v[142:143], v[142:143], v[140:141]
	v_fma_f64 v[140:141], v[203:204], s[10:11], v[233:234]
	v_add_f64_e32 v[152:153], v[152:153], v[191:192]
	s_delay_alu instid0(VALU_DEP_4) | instskip(NEXT) | instid1(VALU_DEP_3)
	v_add_f64_e64 v[171:172], v[78:79], -v[171:172]
	v_add_f64_e32 v[140:141], v[140:141], v[229:230]
	s_delay_alu instid0(VALU_DEP_3) | instskip(SKIP_1) | instid1(VALU_DEP_2)
	v_add_f64_e32 v[152:153], v[164:165], v[152:153]
	v_fma_f64 v[164:165], v[177:178], s[20:21], -v[241:242]
	v_add_f64_e32 v[152:153], v[154:155], v[152:153]
	s_delay_alu instid0(VALU_DEP_2)
	v_add_f64_e32 v[160:161], v[164:165], v[160:161]
	v_fma_f64 v[154:155], v[185:186], s[2:3], -v[245:246]
	v_mul_f64_e32 v[164:165], s[10:11], v[169:170]
	v_mul_f64_e32 v[169:170], s[20:21], v[185:186]
	v_add_f64_e32 v[152:153], v[156:157], v[152:153]
	v_fma_f64 v[156:157], v[197:198], s[10:11], -v[249:250]
	v_add_f64_e32 v[154:155], v[154:155], v[160:161]
	v_fma_f64 v[160:161], v[203:204], s[22:23], -v[253:254]
	v_add_f64_e32 v[164:165], v[164:165], v[213:214]
	v_add_f64_e32 v[169:170], v[169:170], v[72:73]
	s_delay_alu instid0(VALU_DEP_4)
	v_add_f64_e32 v[156:157], v[156:157], v[154:155]
	v_add_f64_e32 v[154:155], v[158:159], v[152:153]
	v_mul_f64_e32 v[158:159], s[14:15], v[173:174]
	v_add_f64_e32 v[162:163], v[164:165], v[162:163]
	v_mul_f64_e32 v[164:165], s[22:23], v[197:198]
	;; [unrolled: 2-line block ×3, first 2 shown]
	v_add_f64_e64 v[158:159], v[0:1], -v[158:159]
	v_mul_f64_e32 v[160:161], s[16:17], v[177:178]
	v_add_f64_e32 v[164:165], v[164:165], v[74:75]
	s_delay_alu instid0(VALU_DEP_4) | instskip(NEXT) | instid1(VALU_DEP_4)
	v_add_f64_e64 v[156:157], v[70:71], -v[156:157]
	v_add_f64_e32 v[158:159], v[158:159], v[195:196]
	s_delay_alu instid0(VALU_DEP_4) | instskip(NEXT) | instid1(VALU_DEP_2)
	v_add_f64_e32 v[160:161], v[160:161], v[2:3]
	v_add_f64_e32 v[156:157], v[156:157], v[158:159]
	s_delay_alu instid0(VALU_DEP_2) | instskip(SKIP_2) | instid1(VALU_DEP_4)
	v_add_f64_e32 v[158:159], v[160:161], v[162:163]
	v_mul_f64_e32 v[160:161], s[28:29], v[211:212]
	v_mul_f64_e32 v[162:163], s[26:27], v[203:204]
	v_add_f64_e32 v[156:157], v[166:167], v[156:157]
	s_delay_alu instid0(VALU_DEP_4) | instskip(NEXT) | instid1(VALU_DEP_4)
	v_add_f64_e32 v[158:159], v[169:170], v[158:159]
	v_add_f64_e64 v[160:161], v[76:77], -v[160:161]
	s_delay_alu instid0(VALU_DEP_4) | instskip(NEXT) | instid1(VALU_DEP_4)
	v_add_f64_e32 v[162:163], v[162:163], v[80:81]
	v_add_f64_e32 v[156:157], v[171:172], v[156:157]
	s_delay_alu instid0(VALU_DEP_4) | instskip(NEXT) | instid1(VALU_DEP_2)
	v_add_f64_e32 v[164:165], v[164:165], v[158:159]
	v_add_f64_e32 v[158:159], v[160:161], v[156:157]
	scratch_load_b32 v160, off, off offset:12 th:TH_LOAD_LU ; 4-byte Folded Reload
	v_add_f64_e32 v[156:157], v[162:163], v[164:165]
	s_wait_loadcnt 0x0
	v_and_b32_e32 v160, 0xffff, v160
	s_delay_alu instid0(VALU_DEP_1)
	v_lshlrev_b32_e32 v160, 4, v160
	ds_store_b128 v160, v[132:135] offset:32
	ds_store_b128 v160, v[136:139] offset:48
	;; [unrolled: 1-line block ×11, first 2 shown]
	ds_store_b128 v160, v[120:123]
	ds_store_b128 v160, v[108:111] offset:192
.LBB0_17:
	s_wait_alu 0xfffe
	s_or_b32 exec_lo, exec_lo, s1
	global_wb scope:SCOPE_SE
	s_wait_dscnt 0x0
	s_barrier_signal -1
	s_barrier_wait -1
	global_inv scope:SCOPE_SE
	ds_load_b128 v[116:119], v255 offset:1664
	ds_load_b128 v[120:123], v255
	scratch_load_b128 v[0:3], off, off offset:16 th:TH_LOAD_LU ; 16-byte Folded Reload
	s_mov_b32 s24, 0xf8bb580b
	s_mov_b32 s40, 0x8eee2c13
	;; [unrolled: 1-line block ×21, first 2 shown]
	s_wait_alu 0xfffe
	s_mov_b32 s30, s40
	s_mov_b32 s29, 0x3fefac9e
	;; [unrolled: 1-line block ×9, first 2 shown]
	s_wait_loadcnt_dscnt 0x1
	v_mul_f64_e32 v[124:125], v[2:3], v[118:119]
	v_mul_f64_e32 v[2:3], v[2:3], v[116:117]
	s_delay_alu instid0(VALU_DEP_2) | instskip(NEXT) | instid1(VALU_DEP_2)
	v_fma_f64 v[124:125], v[0:1], v[116:117], v[124:125]
	v_fma_f64 v[126:127], v[0:1], v[118:119], -v[2:3]
	ds_load_b128 v[0:3], v255 offset:3328
	ds_load_b128 v[116:119], v255 offset:4992
	s_wait_dscnt 0x1
	v_mul_f64_e32 v[128:129], v[38:39], v[0:1]
	s_delay_alu instid0(VALU_DEP_1) | instskip(SKIP_1) | instid1(VALU_DEP_1)
	v_fma_f64 v[128:129], v[36:37], v[2:3], -v[128:129]
	v_mul_f64_e32 v[2:3], v[38:39], v[2:3]
	v_fma_f64 v[130:131], v[36:37], v[0:1], v[2:3]
	ds_load_b128 v[0:3], v255 offset:16640
	s_wait_dscnt 0x0
	v_mul_f64_e32 v[36:37], v[30:31], v[0:1]
	s_delay_alu instid0(VALU_DEP_1) | instskip(SKIP_1) | instid1(VALU_DEP_1)
	v_fma_f64 v[132:133], v[28:29], v[2:3], -v[36:37]
	v_mul_f64_e32 v[2:3], v[30:31], v[2:3]
	v_fma_f64 v[134:135], v[28:29], v[0:1], v[2:3]
	v_mul_f64_e32 v[0:1], v[34:35], v[116:117]
	s_delay_alu instid0(VALU_DEP_1) | instskip(SKIP_1) | instid1(VALU_DEP_1)
	v_fma_f64 v[136:137], v[32:33], v[118:119], -v[0:1]
	v_mul_f64_e32 v[0:1], v[34:35], v[118:119]
	v_fma_f64 v[116:117], v[32:33], v[116:117], v[0:1]
	ds_load_b128 v[0:3], v255 offset:14976
	ds_load_b128 v[28:31], v255 offset:13312
	s_wait_dscnt 0x1
	v_mul_f64_e32 v[32:33], v[26:27], v[0:1]
	s_delay_alu instid0(VALU_DEP_1) | instskip(SKIP_1) | instid1(VALU_DEP_1)
	v_fma_f64 v[118:119], v[24:25], v[2:3], -v[32:33]
	v_mul_f64_e32 v[2:3], v[26:27], v[2:3]
	v_fma_f64 v[138:139], v[24:25], v[0:1], v[2:3]
	s_wait_dscnt 0x0
	v_mul_f64_e32 v[0:1], v[22:23], v[28:29]
	s_delay_alu instid0(VALU_DEP_2) | instskip(NEXT) | instid1(VALU_DEP_2)
	v_add_f64_e32 v[171:172], v[130:131], v[138:139]
	v_fma_f64 v[140:141], v[20:21], v[30:31], -v[0:1]
	v_mul_f64_e32 v[0:1], v[22:23], v[30:31]
	v_add_f64_e64 v[30:31], v[124:125], -v[134:135]
	v_add_f64_e64 v[175:176], v[130:131], -v[138:139]
	s_delay_alu instid0(VALU_DEP_4) | instskip(NEXT) | instid1(VALU_DEP_4)
	v_add_f64_e32 v[183:184], v[136:137], v[140:141]
	v_fma_f64 v[142:143], v[20:21], v[28:29], v[0:1]
	ds_load_b128 v[0:3], v255 offset:6656
	ds_load_b128 v[20:23], v255 offset:8320
	s_wait_dscnt 0x1
	v_mul_f64_e32 v[24:25], v[18:19], v[2:3]
	v_mul_f64_e32 v[187:188], s[16:17], v[183:184]
	v_add_f64_e32 v[179:180], v[116:117], v[142:143]
	v_add_f64_e64 v[185:186], v[116:117], -v[142:143]
	v_mul_f64_e32 v[219:220], s[2:3], v[183:184]
	v_mul_f64_e32 v[235:236], s[14:15], v[183:184]
	;; [unrolled: 1-line block ×3, first 2 shown]
	v_fma_f64 v[144:145], v[16:17], v[0:1], v[24:25]
	v_mul_f64_e32 v[0:1], v[18:19], v[0:1]
	s_delay_alu instid0(VALU_DEP_1)
	v_fma_f64 v[146:147], v[16:17], v[2:3], -v[0:1]
	ds_load_b128 v[0:3], v255 offset:11648
	ds_load_b128 v[16:19], v255 offset:9984
	global_wb scope:SCOPE_SE
	s_wait_dscnt 0x0
	s_barrier_signal -1
	s_barrier_wait -1
	global_inv scope:SCOPE_SE
	v_mul_f64_e32 v[24:25], v[14:15], v[2:3]
	s_delay_alu instid0(VALU_DEP_1) | instskip(SKIP_1) | instid1(VALU_DEP_2)
	v_fma_f64 v[148:149], v[12:13], v[0:1], v[24:25]
	v_mul_f64_e32 v[0:1], v[14:15], v[0:1]
	v_add_f64_e32 v[191:192], v[144:145], v[148:149]
	s_delay_alu instid0(VALU_DEP_2) | instskip(SKIP_2) | instid1(VALU_DEP_3)
	v_fma_f64 v[150:151], v[12:13], v[2:3], -v[0:1]
	v_mul_f64_e32 v[0:1], v[10:11], v[22:23]
	v_add_f64_e64 v[197:198], v[144:145], -v[148:149]
	v_add_f64_e64 v[189:190], v[146:147], -v[150:151]
	s_delay_alu instid0(VALU_DEP_3)
	v_fma_f64 v[152:153], v[8:9], v[20:21], v[0:1]
	v_mul_f64_e32 v[0:1], v[10:11], v[20:21]
	v_add_f64_e32 v[10:11], v[124:125], v[134:135]
	v_add_f64_e32 v[124:125], v[120:121], v[124:125]
	;; [unrolled: 1-line block ×3, first 2 shown]
	v_mul_f64_e32 v[193:194], s[20:21], v[189:190]
	s_wait_alu 0xfffe
	v_mul_f64_e32 v[221:222], s[28:29], v[189:190]
	v_fma_f64 v[154:155], v[8:9], v[22:23], -v[0:1]
	v_mul_f64_e32 v[0:1], v[6:7], v[18:19]
	v_mul_f64_e32 v[237:238], s[24:25], v[189:190]
	;; [unrolled: 1-line block ×7, first 2 shown]
	v_fma_f64 v[156:157], v[4:5], v[16:17], v[0:1]
	v_mul_f64_e32 v[0:1], v[6:7], v[16:17]
	s_delay_alu instid0(VALU_DEP_2) | instskip(NEXT) | instid1(VALU_DEP_2)
	v_add_f64_e32 v[203:204], v[152:153], v[156:157]
	v_fma_f64 v[158:159], v[4:5], v[18:19], -v[0:1]
	v_add_f64_e64 v[0:1], v[126:127], -v[132:133]
	v_add_f64_e64 v[209:210], v[152:153], -v[156:157]
	s_delay_alu instid0(VALU_DEP_3) | instskip(NEXT) | instid1(VALU_DEP_3)
	v_add_f64_e64 v[201:202], v[154:155], -v[158:159]
	v_mul_f64_e32 v[2:3], s[24:25], v[0:1]
	v_mul_f64_e32 v[4:5], s[40:41], v[0:1]
	;; [unrolled: 1-line block ×5, first 2 shown]
	v_add_f64_e32 v[207:208], v[154:155], v[158:159]
	v_mul_f64_e32 v[205:206], s[36:37], v[201:202]
	v_fma_f64 v[12:13], v[10:11], s[18:19], v[2:3]
	v_fma_f64 v[2:3], v[10:11], s[18:19], -v[2:3]
	v_fma_f64 v[14:15], v[10:11], s[14:15], v[4:5]
	v_fma_f64 v[4:5], v[10:11], s[14:15], -v[4:5]
	;; [unrolled: 2-line block ×5, first 2 shown]
	v_add_f64_e32 v[10:11], v[126:127], v[132:133]
	v_mul_f64_e32 v[211:212], s[2:3], v[207:208]
	v_mul_f64_e32 v[225:226], s[34:35], v[201:202]
	v_mul_f64_e32 v[227:228], s[18:19], v[207:208]
	v_mul_f64_e32 v[241:242], s[20:21], v[201:202]
	v_add_f64_e32 v[126:127], v[122:123], v[126:127]
	v_mul_f64_e32 v[251:252], s[30:31], v[201:202]
	v_mul_f64_e32 v[253:254], s[14:15], v[207:208]
	v_add_f64_e32 v[162:163], v[120:121], v[12:13]
	v_add_f64_e32 v[2:3], v[120:121], v[2:3]
	;; [unrolled: 1-line block ×5, first 2 shown]
	v_mul_f64_e32 v[24:25], s[14:15], v[10:11]
	v_mul_f64_e32 v[26:27], s[16:17], v[10:11]
	;; [unrolled: 1-line block ×5, first 2 shown]
	v_fma_f64 v[32:33], v[30:31], s[30:31], v[24:25]
	v_fma_f64 v[24:25], v[30:31], s[40:41], v[24:25]
	;; [unrolled: 1-line block ×10, first 2 shown]
	v_add_f64_e32 v[30:31], v[122:123], v[32:33]
	v_add_f64_e32 v[169:170], v[122:123], v[24:25]
	v_add_f64_e64 v[24:25], v[128:129], -v[118:119]
	v_add_f64_e32 v[166:167], v[122:123], v[26:27]
	v_add_f64_e32 v[26:27], v[128:129], v[118:119]
	;; [unrolled: 1-line block ×11, first 2 shown]
	v_add_f64_e64 v[28:29], v[136:137], -v[140:141]
	v_add_f64_e32 v[38:39], v[122:123], v[38:39]
	v_add_f64_e32 v[10:11], v[122:123], v[10:11]
	;; [unrolled: 1-line block ×3, first 2 shown]
	v_mul_f64_e32 v[173:174], s[40:41], v[24:25]
	v_mul_f64_e32 v[213:214], s[20:21], v[24:25]
	;; [unrolled: 1-line block ×10, first 2 shown]
	v_fma_f64 v[0:1], v[171:172], s[14:15], -v[173:174]
	s_delay_alu instid0(VALU_DEP_3) | instskip(NEXT) | instid1(VALU_DEP_2)
	v_fma_f64 v[18:19], v[179:180], s[2:3], v[217:218]
	v_add_f64_e32 v[0:1], v[0:1], v[2:3]
	v_fma_f64 v[2:3], v[175:176], s[40:41], v[177:178]
	s_delay_alu instid0(VALU_DEP_1) | instskip(SKIP_1) | instid1(VALU_DEP_1)
	v_add_f64_e32 v[2:3], v[2:3], v[12:13]
	v_fma_f64 v[12:13], v[179:180], s[16:17], -v[181:182]
	v_add_f64_e32 v[0:1], v[12:13], v[0:1]
	v_fma_f64 v[12:13], v[185:186], s[38:39], v[187:188]
	s_delay_alu instid0(VALU_DEP_1) | instskip(SKIP_1) | instid1(VALU_DEP_1)
	v_add_f64_e32 v[2:3], v[12:13], v[2:3]
	v_fma_f64 v[12:13], v[191:192], s[10:11], -v[193:194]
	;; [unrolled: 5-line block ×3, first 2 shown]
	v_add_f64_e32 v[0:1], v[12:13], v[0:1]
	v_fma_f64 v[12:13], v[209:210], s[36:37], v[211:212]
	s_delay_alu instid0(VALU_DEP_1) | instskip(SKIP_1) | instid1(VALU_DEP_1)
	v_add_f64_e32 v[2:3], v[12:13], v[2:3]
	v_fma_f64 v[12:13], v[171:172], s[10:11], v[213:214]
	v_add_f64_e32 v[12:13], v[12:13], v[14:15]
	v_fma_f64 v[14:15], v[175:176], s[26:27], v[215:216]
	s_delay_alu instid0(VALU_DEP_2) | instskip(NEXT) | instid1(VALU_DEP_2)
	v_add_f64_e32 v[12:13], v[18:19], v[12:13]
	v_add_f64_e32 v[14:15], v[14:15], v[30:31]
	v_fma_f64 v[18:19], v[185:186], s[36:37], v[219:220]
	s_delay_alu instid0(VALU_DEP_1) | instskip(SKIP_1) | instid1(VALU_DEP_1)
	v_add_f64_e32 v[14:15], v[18:19], v[14:15]
	v_fma_f64 v[18:19], v[191:192], s[16:17], v[221:222]
	v_add_f64_e32 v[12:13], v[18:19], v[12:13]
	v_fma_f64 v[18:19], v[197:198], s[38:39], v[223:224]
	s_delay_alu instid0(VALU_DEP_1) | instskip(SKIP_1) | instid1(VALU_DEP_1)
	v_add_f64_e32 v[14:15], v[18:19], v[14:15]
	v_fma_f64 v[18:19], v[203:204], s[18:19], v[225:226]
	;; [unrolled: 5-line block ×6, first 2 shown]
	v_add_f64_e32 v[16:17], v[16:17], v[4:5]
	v_mul_f64_e32 v[4:5], s[10:11], v[207:208]
	s_delay_alu instid0(VALU_DEP_1) | instskip(NEXT) | instid1(VALU_DEP_1)
	v_fma_f64 v[20:21], v[209:210], s[26:27], v[4:5]
	v_add_f64_e32 v[18:19], v[20:21], v[18:19]
	v_fma_f64 v[20:21], v[171:172], s[16:17], v[243:244]
	s_delay_alu instid0(VALU_DEP_1) | instskip(SKIP_1) | instid1(VALU_DEP_1)
	v_add_f64_e32 v[20:21], v[20:21], v[32:33]
	v_mul_f64_e32 v[32:33], s[16:17], v[26:27]
	v_fma_f64 v[22:23], v[175:176], s[38:39], v[32:33]
	s_delay_alu instid0(VALU_DEP_1) | instskip(SKIP_2) | instid1(VALU_DEP_2)
	v_add_f64_e32 v[22:23], v[22:23], v[34:35]
	v_mul_f64_e32 v[34:35], s[24:25], v[28:29]
	v_mul_f64_e32 v[28:29], s[20:21], v[28:29]
	v_fma_f64 v[30:31], v[179:180], s[18:19], v[34:35]
	s_delay_alu instid0(VALU_DEP_1) | instskip(SKIP_1) | instid1(VALU_DEP_1)
	v_add_f64_e32 v[20:21], v[30:31], v[20:21]
	v_fma_f64 v[30:31], v[185:186], s[34:35], v[245:246]
	v_add_f64_e32 v[22:23], v[30:31], v[22:23]
	v_fma_f64 v[30:31], v[191:192], s[2:3], v[247:248]
	s_delay_alu instid0(VALU_DEP_1) | instskip(SKIP_1) | instid1(VALU_DEP_1)
	v_add_f64_e32 v[20:21], v[30:31], v[20:21]
	v_fma_f64 v[30:31], v[197:198], s[22:23], v[249:250]
	v_add_f64_e32 v[22:23], v[30:31], v[22:23]
	;; [unrolled: 5-line block ×3, first 2 shown]
	v_mul_f64_e32 v[30:31], s[34:35], v[24:25]
	s_delay_alu instid0(VALU_DEP_1) | instskip(SKIP_1) | instid1(VALU_DEP_2)
	v_fma_f64 v[24:25], v[171:172], s[18:19], v[30:31]
	v_fma_f64 v[30:31], v[171:172], s[18:19], -v[30:31]
	v_add_f64_e32 v[24:25], v[24:25], v[36:37]
	v_mul_f64_e32 v[36:37], s[18:19], v[26:27]
	s_delay_alu instid0(VALU_DEP_3) | instskip(SKIP_1) | instid1(VALU_DEP_3)
	v_add_f64_e32 v[30:31], v[30:31], v[120:121]
	v_fma_f64 v[120:121], v[179:180], s[16:17], v[181:182]
	v_fma_f64 v[26:27], v[175:176], s[24:25], v[36:37]
	;; [unrolled: 1-line block ×3, first 2 shown]
	s_delay_alu instid0(VALU_DEP_2) | instskip(SKIP_2) | instid1(VALU_DEP_4)
	v_add_f64_e32 v[26:27], v[26:27], v[38:39]
	v_fma_f64 v[38:39], v[179:180], s[10:11], v[28:29]
	v_fma_f64 v[28:29], v[179:180], s[10:11], -v[28:29]
	v_add_f64_e32 v[10:11], v[36:37], v[10:11]
	s_delay_alu instid0(VALU_DEP_3) | instskip(SKIP_1) | instid1(VALU_DEP_4)
	v_add_f64_e32 v[24:25], v[38:39], v[24:25]
	v_mul_f64_e32 v[38:39], s[10:11], v[183:184]
	v_add_f64_e32 v[28:29], v[28:29], v[30:31]
	s_delay_alu instid0(VALU_DEP_2) | instskip(SKIP_2) | instid1(VALU_DEP_3)
	v_fma_f64 v[183:184], v[185:186], s[26:27], v[38:39]
	v_fma_f64 v[30:31], v[185:186], s[20:21], v[38:39]
	;; [unrolled: 1-line block ×3, first 2 shown]
	v_add_f64_e32 v[26:27], v[183:184], v[26:27]
	v_mul_f64_e32 v[183:184], s[30:31], v[189:190]
	s_delay_alu instid0(VALU_DEP_4) | instskip(NEXT) | instid1(VALU_DEP_2)
	v_add_f64_e32 v[10:11], v[30:31], v[10:11]
	v_fma_f64 v[189:190], v[191:192], s[14:15], v[183:184]
	v_fma_f64 v[30:31], v[191:192], s[14:15], -v[183:184]
	s_delay_alu instid0(VALU_DEP_2) | instskip(SKIP_1) | instid1(VALU_DEP_3)
	v_add_f64_e32 v[24:25], v[189:190], v[24:25]
	v_mul_f64_e32 v[189:190], s[14:15], v[195:196]
	v_add_f64_e32 v[28:29], v[30:31], v[28:29]
	s_delay_alu instid0(VALU_DEP_2) | instskip(SKIP_1) | instid1(VALU_DEP_2)
	v_fma_f64 v[195:196], v[197:198], s[40:41], v[189:190]
	v_fma_f64 v[30:31], v[197:198], s[30:31], v[189:190]
	v_add_f64_e32 v[26:27], v[195:196], v[26:27]
	v_mul_f64_e32 v[195:196], s[38:39], v[201:202]
	v_mul_f64_e32 v[201:202], s[16:17], v[207:208]
	s_delay_alu instid0(VALU_DEP_4) | instskip(NEXT) | instid1(VALU_DEP_3)
	v_add_f64_e32 v[10:11], v[30:31], v[10:11]
	v_fma_f64 v[30:31], v[203:204], s[16:17], -v[195:196]
	s_delay_alu instid0(VALU_DEP_3) | instskip(SKIP_1) | instid1(VALU_DEP_3)
	v_fma_f64 v[36:37], v[209:210], s[38:39], v[201:202]
	v_fma_f64 v[207:208], v[203:204], s[16:17], v[195:196]
	v_add_f64_e32 v[28:29], v[30:31], v[28:29]
	s_delay_alu instid0(VALU_DEP_3) | instskip(SKIP_4) | instid1(VALU_DEP_4)
	v_add_f64_e32 v[30:31], v[36:37], v[10:11]
	v_fma_f64 v[10:11], v[171:172], s[16:17], -v[243:244]
	v_fma_f64 v[36:37], v[209:210], s[20:21], v[4:5]
	v_add_f64_e32 v[24:25], v[207:208], v[24:25]
	v_fma_f64 v[207:208], v[209:210], s[28:29], v[201:202]
	v_add_f64_e32 v[8:9], v[10:11], v[8:9]
	v_fma_f64 v[10:11], v[175:176], s[28:29], v[32:33]
	v_fma_f64 v[32:33], v[179:180], s[18:19], -v[34:35]
	v_fma_f64 v[34:35], v[209:210], s[30:31], v[253:254]
	v_add_f64_e32 v[26:27], v[207:208], v[26:27]
	s_delay_alu instid0(VALU_DEP_4) | instskip(NEXT) | instid1(VALU_DEP_4)
	v_add_f64_e32 v[10:11], v[10:11], v[164:165]
	v_add_f64_e32 v[8:9], v[32:33], v[8:9]
	v_fma_f64 v[32:33], v[185:186], s[24:25], v[245:246]
	s_delay_alu instid0(VALU_DEP_1) | instskip(SKIP_1) | instid1(VALU_DEP_1)
	v_add_f64_e32 v[10:11], v[32:33], v[10:11]
	v_fma_f64 v[32:33], v[191:192], s[2:3], -v[247:248]
	v_add_f64_e32 v[8:9], v[32:33], v[8:9]
	v_fma_f64 v[32:33], v[197:198], s[36:37], v[249:250]
	s_delay_alu instid0(VALU_DEP_1) | instskip(SKIP_1) | instid1(VALU_DEP_2)
	v_add_f64_e32 v[10:11], v[32:33], v[10:11]
	v_fma_f64 v[32:33], v[203:204], s[14:15], -v[251:252]
	v_add_f64_e32 v[34:35], v[34:35], v[10:11]
	s_delay_alu instid0(VALU_DEP_2) | instskip(SKIP_2) | instid1(VALU_DEP_2)
	v_add_f64_e32 v[32:33], v[32:33], v[8:9]
	v_fma_f64 v[8:9], v[171:172], s[2:3], -v[229:230]
	v_fma_f64 v[10:11], v[179:180], s[14:15], -v[233:234]
	v_add_f64_e32 v[6:7], v[8:9], v[6:7]
	v_fma_f64 v[8:9], v[175:176], s[22:23], v[231:232]
	s_delay_alu instid0(VALU_DEP_2) | instskip(NEXT) | instid1(VALU_DEP_2)
	v_add_f64_e32 v[6:7], v[10:11], v[6:7]
	v_add_f64_e32 v[8:9], v[8:9], v[166:167]
	v_fma_f64 v[10:11], v[185:186], s[30:31], v[235:236]
	s_delay_alu instid0(VALU_DEP_1) | instskip(SKIP_1) | instid1(VALU_DEP_1)
	v_add_f64_e32 v[8:9], v[10:11], v[8:9]
	v_fma_f64 v[10:11], v[191:192], s[18:19], -v[237:238]
	v_add_f64_e32 v[6:7], v[10:11], v[6:7]
	v_fma_f64 v[10:11], v[197:198], s[24:25], v[239:240]
	s_delay_alu instid0(VALU_DEP_1) | instskip(SKIP_1) | instid1(VALU_DEP_1)
	v_add_f64_e32 v[8:9], v[10:11], v[8:9]
	v_fma_f64 v[10:11], v[203:204], s[10:11], -v[241:242]
	v_add_f64_e32 v[4:5], v[10:11], v[6:7]
	s_delay_alu instid0(VALU_DEP_3) | instskip(SKIP_3) | instid1(VALU_DEP_3)
	v_add_f64_e32 v[6:7], v[36:37], v[8:9]
	v_fma_f64 v[8:9], v[171:172], s[10:11], -v[213:214]
	v_fma_f64 v[10:11], v[175:176], s[20:21], v[215:216]
	v_fma_f64 v[36:37], v[179:180], s[2:3], -v[217:218]
	v_add_f64_e32 v[8:9], v[8:9], v[160:161]
	s_delay_alu instid0(VALU_DEP_3) | instskip(SKIP_1) | instid1(VALU_DEP_3)
	v_add_f64_e32 v[10:11], v[10:11], v[169:170]
	v_fma_f64 v[160:161], v[185:186], s[28:29], v[187:188]
	v_add_f64_e32 v[8:9], v[36:37], v[8:9]
	v_fma_f64 v[36:37], v[185:186], s[22:23], v[219:220]
	s_delay_alu instid0(VALU_DEP_1) | instskip(SKIP_1) | instid1(VALU_DEP_1)
	v_add_f64_e32 v[10:11], v[36:37], v[10:11]
	v_fma_f64 v[36:37], v[191:192], s[16:17], -v[221:222]
	v_add_f64_e32 v[8:9], v[36:37], v[8:9]
	v_fma_f64 v[36:37], v[197:198], s[28:29], v[223:224]
	s_delay_alu instid0(VALU_DEP_1) | instskip(SKIP_1) | instid1(VALU_DEP_2)
	v_add_f64_e32 v[10:11], v[36:37], v[10:11]
	v_fma_f64 v[36:37], v[203:204], s[18:19], -v[225:226]
	v_add_f64_e32 v[10:11], v[38:39], v[10:11]
	s_delay_alu instid0(VALU_DEP_2) | instskip(SKIP_2) | instid1(VALU_DEP_2)
	v_add_f64_e32 v[8:9], v[36:37], v[8:9]
	v_fma_f64 v[36:37], v[171:172], s[14:15], v[173:174]
	v_fma_f64 v[38:39], v[175:176], s[30:31], v[177:178]
	v_add_f64_e32 v[36:37], v[36:37], v[162:163]
	s_delay_alu instid0(VALU_DEP_2) | instskip(SKIP_2) | instid1(VALU_DEP_4)
	v_add_f64_e32 v[38:39], v[38:39], v[122:123]
	v_fma_f64 v[122:123], v[191:192], s[10:11], v[193:194]
	v_fma_f64 v[162:163], v[197:198], s[26:27], v[199:200]
	v_add_f64_e32 v[36:37], v[120:121], v[36:37]
	v_fma_f64 v[120:121], v[203:204], s[2:3], v[205:206]
	v_add_f64_e32 v[38:39], v[160:161], v[38:39]
	v_fma_f64 v[160:161], v[209:210], s[22:23], v[211:212]
	s_delay_alu instid0(VALU_DEP_4) | instskip(SKIP_1) | instid1(VALU_DEP_4)
	v_add_f64_e32 v[36:37], v[122:123], v[36:37]
	v_add_f64_e32 v[122:123], v[126:127], v[128:129]
	;; [unrolled: 1-line block ×3, first 2 shown]
	s_delay_alu instid0(VALU_DEP_3) | instskip(SKIP_1) | instid1(VALU_DEP_3)
	v_add_f64_e32 v[36:37], v[120:121], v[36:37]
	v_add_f64_e32 v[120:121], v[124:125], v[130:131]
	;; [unrolled: 1-line block ×3, first 2 shown]
	s_delay_alu instid0(VALU_DEP_2) | instskip(SKIP_1) | instid1(VALU_DEP_2)
	v_add_f64_e32 v[116:117], v[120:121], v[116:117]
	v_add_f64_e32 v[120:121], v[122:123], v[136:137]
	;; [unrolled: 1-line block ×3, first 2 shown]
	s_delay_alu instid0(VALU_DEP_2) | instskip(NEXT) | instid1(VALU_DEP_2)
	v_add_f64_e32 v[120:121], v[120:121], v[146:147]
	v_add_f64_e32 v[116:117], v[116:117], v[152:153]
	s_delay_alu instid0(VALU_DEP_2) | instskip(NEXT) | instid1(VALU_DEP_2)
	v_add_f64_e32 v[120:121], v[120:121], v[154:155]
	v_add_f64_e32 v[116:117], v[116:117], v[156:157]
	s_delay_alu instid0(VALU_DEP_2) | instskip(NEXT) | instid1(VALU_DEP_2)
	v_add_f64_e32 v[120:121], v[120:121], v[158:159]
	v_add_f64_e32 v[116:117], v[116:117], v[148:149]
	s_delay_alu instid0(VALU_DEP_2) | instskip(NEXT) | instid1(VALU_DEP_2)
	v_add_f64_e32 v[120:121], v[120:121], v[150:151]
	v_add_f64_e32 v[116:117], v[116:117], v[142:143]
	s_delay_alu instid0(VALU_DEP_2) | instskip(NEXT) | instid1(VALU_DEP_2)
	v_add_f64_e32 v[120:121], v[120:121], v[140:141]
	v_add_f64_e32 v[116:117], v[116:117], v[138:139]
	s_delay_alu instid0(VALU_DEP_2) | instskip(NEXT) | instid1(VALU_DEP_2)
	v_add_f64_e32 v[118:119], v[120:121], v[118:119]
	v_add_f64_e32 v[116:117], v[116:117], v[134:135]
	s_delay_alu instid0(VALU_DEP_2)
	v_add_f64_e32 v[118:119], v[118:119], v[132:133]
	ds_store_b128 v168, v[12:15] offset:416
	ds_store_b128 v168, v[16:19] offset:624
	;; [unrolled: 1-line block ×10, first 2 shown]
	ds_store_b128 v168, v[116:119]
	global_wb scope:SCOPE_SE
	s_wait_dscnt 0x0
	s_barrier_signal -1
	s_barrier_wait -1
	global_inv scope:SCOPE_SE
	ds_load_b128 v[12:15], v255
	ds_load_b128 v[116:119], v255 offset:2288
	ds_load_b128 v[28:31], v255 offset:4576
	;; [unrolled: 1-line block ×7, first 2 shown]
	s_and_saveexec_b32 s1, s0
	s_cbranch_execz .LBB0_19
; %bb.18:
	ds_load_b128 v[4:7], v255 offset:1664
	ds_load_b128 v[8:11], v255 offset:3952
	;; [unrolled: 1-line block ×8, first 2 shown]
.LBB0_19:
	s_wait_alu 0xfffe
	s_or_b32 exec_lo, exec_lo, s1
	s_clause 0x3
	scratch_load_b128 v[72:75], off, off offset:48 th:TH_LOAD_LU
	scratch_load_b128 v[68:71], off, off offset:32 th:TH_LOAD_LU
	;; [unrolled: 1-line block ×4, first 2 shown]
	s_wait_dscnt 0x6
	v_mul_f64_e32 v[120:121], v[86:87], v[118:119]
	v_mul_f64_e32 v[86:87], v[86:87], v[116:117]
	s_wait_dscnt 0x1
	v_mul_f64_e32 v[126:127], v[90:91], v[38:39]
	v_mul_f64_e32 v[90:91], v[90:91], v[36:37]
	;; [unrolled: 1-line block ×4, first 2 shown]
	s_mov_b32 s2, 0x667f3bcd
	s_mov_b32 s3, 0xbfe6a09e
	;; [unrolled: 1-line block ×3, first 2 shown]
	s_wait_alu 0xfffe
	s_mov_b32 s10, s2
	v_fma_f64 v[116:117], v[84:85], v[116:117], v[120:121]
	v_fma_f64 v[84:85], v[84:85], v[118:119], -v[86:87]
	v_fma_f64 v[36:37], v[88:89], v[36:37], v[126:127]
	v_fma_f64 v[38:39], v[88:89], v[38:39], -v[90:91]
	;; [unrolled: 2-line block ×3, first 2 shown]
	s_delay_alu instid0(VALU_DEP_2) | instskip(NEXT) | instid1(VALU_DEP_2)
	v_add_f64_e64 v[24:25], v[116:117], -v[24:25]
	v_add_f64_e64 v[26:27], v[84:85], -v[26:27]
	s_wait_loadcnt 0x3
	v_mul_f64_e32 v[122:123], v[74:75], v[30:31]
	v_mul_f64_e32 v[74:75], v[74:75], v[28:29]
	s_wait_loadcnt 0x1
	v_mul_f64_e32 v[124:125], v[82:83], v[34:35]
	v_mul_f64_e32 v[82:83], v[82:83], v[32:33]
	;; [unrolled: 1-line block ×4, first 2 shown]
	s_wait_loadcnt_dscnt 0x0
	v_mul_f64_e32 v[132:133], v[78:79], v[22:23]
	v_mul_f64_e32 v[78:79], v[78:79], v[20:21]
	v_fma_f64 v[28:29], v[72:73], v[28:29], v[122:123]
	v_fma_f64 v[30:31], v[72:73], v[30:31], -v[74:75]
	v_fma_f64 v[32:33], v[80:81], v[32:33], v[124:125]
	v_fma_f64 v[34:35], v[80:81], v[34:35], -v[82:83]
	;; [unrolled: 2-line block ×4, first 2 shown]
	v_fma_f64 v[68:69], v[116:117], 2.0, -v[24:25]
	v_fma_f64 v[70:71], v[84:85], 2.0, -v[26:27]
	v_add_f64_e64 v[36:37], v[28:29], -v[36:37]
	v_add_f64_e64 v[38:39], v[30:31], -v[38:39]
	;; [unrolled: 1-line block ×6, first 2 shown]
	v_fma_f64 v[28:29], v[28:29], 2.0, -v[36:37]
	v_fma_f64 v[30:31], v[30:31], 2.0, -v[38:39]
	;; [unrolled: 1-line block ×4, first 2 shown]
	v_add_f64_e32 v[38:39], v[32:33], v[38:39]
	v_add_f64_e64 v[36:37], v[34:35], -v[36:37]
	v_fma_f64 v[16:17], v[16:17], 2.0, -v[20:21]
	v_fma_f64 v[18:19], v[18:19], 2.0, -v[22:23]
	v_add_f64_e32 v[22:23], v[24:25], v[22:23]
	v_add_f64_e64 v[20:21], v[26:27], -v[20:21]
	v_add_f64_e64 v[28:29], v[12:13], -v[28:29]
	;; [unrolled: 1-line block ×3, first 2 shown]
	v_fma_f64 v[72:73], v[32:33], 2.0, -v[38:39]
	v_fma_f64 v[74:75], v[34:35], 2.0, -v[36:37]
	v_add_f64_e64 v[16:17], v[68:69], -v[16:17]
	v_add_f64_e64 v[18:19], v[70:71], -v[18:19]
	v_fma_f64 v[32:33], v[24:25], 2.0, -v[22:23]
	v_fma_f64 v[24:25], v[26:27], 2.0, -v[20:21]
	s_wait_alu 0xfffe
	v_fma_f64 v[26:27], v[22:23], s[10:11], v[38:39]
	v_fma_f64 v[34:35], v[20:21], s[10:11], v[36:37]
	v_fma_f64 v[76:77], v[12:13], 2.0, -v[28:29]
	v_fma_f64 v[78:79], v[14:15], 2.0, -v[30:31]
	;; [unrolled: 1-line block ×4, first 2 shown]
	v_fma_f64 v[80:81], v[32:33], s[2:3], v[72:73]
	v_fma_f64 v[82:83], v[24:25], s[2:3], v[74:75]
	v_add_f64_e32 v[12:13], v[28:29], v[18:19]
	v_add_f64_e64 v[14:15], v[30:31], -v[16:17]
	v_fma_f64 v[16:17], v[20:21], s[10:11], v[26:27]
	v_fma_f64 v[18:19], v[22:23], s[2:3], v[34:35]
	v_add_f64_e64 v[20:21], v[76:77], -v[68:69]
	v_add_f64_e64 v[22:23], v[78:79], -v[70:71]
	v_fma_f64 v[24:25], v[24:25], s[10:11], v[80:81]
	v_fma_f64 v[26:27], v[32:33], s[2:3], v[82:83]
	v_fma_f64 v[28:29], v[28:29], 2.0, -v[12:13]
	v_fma_f64 v[30:31], v[30:31], 2.0, -v[14:15]
	;; [unrolled: 1-line block ×8, first 2 shown]
	ds_store_b128 v255, v[28:31] offset:4576
	ds_store_b128 v255, v[32:35] offset:6864
	;; [unrolled: 1-line block ×4, first 2 shown]
	ds_store_b128 v255, v[36:39]
	ds_store_b128 v255, v[68:71] offset:2288
	ds_store_b128 v255, v[12:15] offset:13728
	;; [unrolled: 1-line block ×3, first 2 shown]
	s_and_saveexec_b32 s1, s0
	s_cbranch_execz .LBB0_21
; %bb.20:
	v_mul_f64_e32 v[12:13], v[42:43], v[108:109]
	v_mul_f64_e32 v[14:15], v[46:47], v[2:3]
	;; [unrolled: 1-line block ×14, first 2 shown]
	v_fma_f64 v[12:13], v[40:41], v[110:111], -v[12:13]
	v_fma_f64 v[0:1], v[44:45], v[0:1], v[14:15]
	v_fma_f64 v[14:15], v[52:53], v[100:101], v[16:17]
	v_fma_f64 v[10:11], v[48:49], v[10:11], -v[18:19]
	v_fma_f64 v[16:17], v[64:65], v[98:99], -v[20:21]
	v_fma_f64 v[18:19], v[56:57], v[112:113], v[22:23]
	v_fma_f64 v[20:21], v[60:61], v[104:105], v[24:25]
	v_fma_f64 v[8:9], v[48:49], v[8:9], v[26:27]
	v_fma_f64 v[2:3], v[44:45], v[2:3], -v[28:29]
	v_fma_f64 v[22:23], v[52:53], v[102:103], -v[30:31]
	v_fma_f64 v[24:25], v[64:65], v[96:97], v[32:33]
	v_fma_f64 v[26:27], v[40:41], v[108:109], v[34:35]
	v_fma_f64 v[28:29], v[56:57], v[114:115], -v[36:37]
	v_fma_f64 v[30:31], v[60:61], v[106:107], -v[38:39]
	v_add_f64_e64 v[12:13], v[6:7], -v[12:13]
	v_add_f64_e64 v[14:15], v[0:1], -v[14:15]
	v_add_f64_e64 v[16:17], v[10:11], -v[16:17]
	v_add_f64_e64 v[20:21], v[18:19], -v[20:21]
	v_add_f64_e64 v[22:23], v[2:3], -v[22:23]
	v_add_f64_e64 v[24:25], v[8:9], -v[24:25]
	v_add_f64_e64 v[26:27], v[4:5], -v[26:27]
	v_add_f64_e64 v[30:31], v[28:29], -v[30:31]
	v_fma_f64 v[6:7], v[6:7], 2.0, -v[12:13]
	v_add_f64_e64 v[32:33], v[12:13], -v[14:15]
	v_fma_f64 v[0:1], v[0:1], 2.0, -v[14:15]
	v_fma_f64 v[10:11], v[10:11], 2.0, -v[16:17]
	v_add_f64_e64 v[34:35], v[16:17], -v[20:21]
	v_fma_f64 v[18:19], v[18:19], 2.0, -v[20:21]
	v_fma_f64 v[2:3], v[2:3], 2.0, -v[22:23]
	;; [unrolled: 1-line block ×5, first 2 shown]
	v_add_f64_e32 v[14:15], v[30:31], v[24:25]
	v_add_f64_e32 v[28:29], v[22:23], v[26:27]
	v_fma_f64 v[30:31], v[12:13], 2.0, -v[32:33]
	v_fma_f64 v[16:17], v[16:17], 2.0, -v[34:35]
	v_add_f64_e64 v[22:23], v[6:7], -v[2:3]
	v_add_f64_e64 v[12:13], v[8:9], -v[18:19]
	v_add_f64_e64 v[18:19], v[10:11], -v[20:21]
	v_add_f64_e64 v[20:21], v[4:5], -v[0:1]
	v_fma_f64 v[24:25], v[24:25], 2.0, -v[14:15]
	v_fma_f64 v[36:37], v[26:27], 2.0, -v[28:29]
	v_fma_f64 v[0:1], v[34:35], s[10:11], v[32:33]
	v_fma_f64 v[26:27], v[14:15], s[10:11], v[28:29]
	;; [unrolled: 1-line block ×3, first 2 shown]
	v_fma_f64 v[40:41], v[6:7], 2.0, -v[22:23]
	v_fma_f64 v[8:9], v[8:9], 2.0, -v[12:13]
	v_add_f64_e64 v[6:7], v[22:23], -v[12:13]
	v_fma_f64 v[42:43], v[10:11], 2.0, -v[18:19]
	v_fma_f64 v[44:45], v[4:5], 2.0, -v[20:21]
	v_add_f64_e32 v[4:5], v[20:21], v[18:19]
	v_fma_f64 v[46:47], v[24:25], s[2:3], v[36:37]
	v_fma_f64 v[2:3], v[14:15], s[2:3], v[0:1]
	;; [unrolled: 1-line block ×4, first 2 shown]
	v_fma_f64 v[22:23], v[22:23], 2.0, -v[6:7]
	v_add_f64_e64 v[14:15], v[40:41], -v[42:43]
	v_add_f64_e64 v[12:13], v[44:45], -v[8:9]
	v_fma_f64 v[20:21], v[20:21], 2.0, -v[4:5]
	v_fma_f64 v[8:9], v[16:17], s[10:11], v[46:47]
	v_fma_f64 v[18:19], v[32:33], 2.0, -v[2:3]
	v_fma_f64 v[16:17], v[28:29], 2.0, -v[0:1]
	v_fma_f64 v[26:27], v[30:31], 2.0, -v[10:11]
	v_fma_f64 v[30:31], v[40:41], 2.0, -v[14:15]
	v_fma_f64 v[28:29], v[44:45], 2.0, -v[12:13]
	v_fma_f64 v[24:25], v[36:37], 2.0, -v[8:9]
	ds_store_b128 v255, v[20:23] offset:6240
	ds_store_b128 v255, v[16:19] offset:8528
	;; [unrolled: 1-line block ×8, first 2 shown]
.LBB0_21:
	s_wait_alu 0xfffe
	s_or_b32 exec_lo, exec_lo, s1
	global_wb scope:SCOPE_SE
	s_wait_dscnt 0x0
	s_barrier_signal -1
	s_barrier_wait -1
	global_inv scope:SCOPE_SE
	s_and_b32 exec_lo, exec_lo, vcc_lo
	s_cbranch_execz .LBB0_23
; %bb.22:
	s_clause 0xb
	global_load_b128 v[0:3], v255, s[8:9]
	global_load_b128 v[4:7], v255, s[8:9] offset:1408
	global_load_b128 v[8:11], v255, s[8:9] offset:2816
	;; [unrolled: 1-line block ×11, first 2 shown]
	s_clause 0x1
	scratch_load_b64 v[48:49], off, off offset:4 th:TH_LOAD_LU
	scratch_load_b32 v65, off, off th:TH_LOAD_LU
	s_mul_u64 s[0:1], s[4:5], 0x580
	s_mov_b32 s2, 0x55ee191
	s_mov_b32 s3, 0x3f4ca4b3
	s_wait_loadcnt 0x1
	v_mov_b32_e32 v49, v48
	s_wait_loadcnt 0x0
	v_mad_co_u64_u32 v[100:101], null, s4, v65, 0
	s_delay_alu instid0(VALU_DEP_2) | instskip(NEXT) | instid1(VALU_DEP_1)
	v_mad_co_u64_u32 v[88:89], null, s6, v49, 0
	v_mov_b32_e32 v48, v89
	s_delay_alu instid0(VALU_DEP_1) | instskip(NEXT) | instid1(VALU_DEP_4)
	v_mad_co_u64_u32 v[72:73], null, s7, v49, v[48:49]
	v_mov_b32_e32 v64, v101
	ds_load_b128 v[48:51], v255
	ds_load_b128 v[52:55], v255 offset:1408
	ds_load_b128 v[56:59], v255 offset:2816
	;; [unrolled: 1-line block ×3, first 2 shown]
	v_mov_b32_e32 v89, v72
	v_mad_co_u64_u32 v[90:91], null, s5, v65, v[64:65]
	ds_load_b128 v[64:67], v255 offset:5632
	ds_load_b128 v[68:71], v255 offset:7040
	;; [unrolled: 1-line block ×6, first 2 shown]
	v_lshlrev_b64_e32 v[102:103], 4, v[88:89]
	v_mov_b32_e32 v101, v90
	ds_load_b128 v[88:91], v255 offset:14080
	ds_load_b128 v[92:95], v255 offset:15488
	;; [unrolled: 1-line block ×3, first 2 shown]
	v_add_co_u32 v126, vcc_lo, s12, v102
	v_add_co_ci_u32_e32 v127, vcc_lo, s13, v103, vcc_lo
	s_wait_dscnt 0xc
	v_mul_f64_e32 v[102:103], v[50:51], v[2:3]
	v_mul_f64_e32 v[2:3], v[48:49], v[2:3]
	s_wait_dscnt 0xb
	v_mul_f64_e32 v[104:105], v[54:55], v[6:7]
	v_mul_f64_e32 v[6:7], v[52:53], v[6:7]
	;; [unrolled: 3-line block ×12, first 2 shown]
	v_lshlrev_b64_e32 v[100:101], 4, v[100:101]
	s_delay_alu instid0(VALU_DEP_1) | instskip(SKIP_1) | instid1(VALU_DEP_2)
	v_add_co_u32 v100, vcc_lo, v126, v100
	s_wait_alu 0xfffd
	v_add_co_ci_u32_e32 v101, vcc_lo, v127, v101, vcc_lo
	s_wait_alu 0xfffe
	s_delay_alu instid0(VALU_DEP_2) | instskip(SKIP_1) | instid1(VALU_DEP_2)
	v_add_co_u32 v126, vcc_lo, v100, s0
	s_wait_alu 0xfffd
	v_add_co_ci_u32_e32 v127, vcc_lo, s1, v101, vcc_lo
	v_fma_f64 v[48:49], v[48:49], v[0:1], v[102:103]
	v_fma_f64 v[2:3], v[0:1], v[50:51], -v[2:3]
	v_fma_f64 v[50:51], v[52:53], v[4:5], v[104:105]
	v_fma_f64 v[6:7], v[4:5], v[54:55], -v[6:7]
	;; [unrolled: 2-line block ×12, first 2 shown]
	v_add_co_u32 v128, vcc_lo, v126, s0
	s_wait_alu 0xfffd
	v_add_co_ci_u32_e32 v129, vcc_lo, s1, v127, vcc_lo
	s_delay_alu instid0(VALU_DEP_2) | instskip(SKIP_1) | instid1(VALU_DEP_2)
	v_add_co_u32 v72, vcc_lo, v128, s0
	s_wait_alu 0xfffd
	v_add_co_ci_u32_e32 v73, vcc_lo, s1, v129, vcc_lo
	s_delay_alu instid0(VALU_DEP_2) | instskip(SKIP_1) | instid1(VALU_DEP_2)
	v_add_co_u32 v74, vcc_lo, v72, s0
	s_wait_alu 0xfffd
	v_add_co_ci_u32_e32 v75, vcc_lo, s1, v73, vcc_lo
	v_mul_f64_e32 v[0:1], s[2:3], v[48:49]
	v_mul_f64_e32 v[2:3], s[2:3], v[2:3]
	;; [unrolled: 1-line block ×12, first 2 shown]
	v_add_co_u32 v76, vcc_lo, v74, s0
	v_mul_f64_e32 v[24:25], s[2:3], v[60:61]
	v_mul_f64_e32 v[26:27], s[2:3], v[26:27]
	;; [unrolled: 1-line block ×4, first 2 shown]
	s_wait_alu 0xfffd
	v_add_co_ci_u32_e32 v77, vcc_lo, s1, v75, vcc_lo
	v_mul_f64_e32 v[32:33], s[2:3], v[64:65]
	v_mul_f64_e32 v[34:35], s[2:3], v[34:35]
	;; [unrolled: 1-line block ×8, first 2 shown]
	v_add_co_u32 v48, vcc_lo, v76, s0
	s_wait_alu 0xfffd
	v_add_co_ci_u32_e32 v49, vcc_lo, s1, v77, vcc_lo
	s_delay_alu instid0(VALU_DEP_2) | instskip(SKIP_1) | instid1(VALU_DEP_2)
	v_add_co_u32 v50, vcc_lo, v48, s0
	s_wait_alu 0xfffd
	v_add_co_ci_u32_e32 v51, vcc_lo, s1, v49, vcc_lo
	s_delay_alu instid0(VALU_DEP_2) | instskip(SKIP_1) | instid1(VALU_DEP_2)
	;; [unrolled: 4-line block ×5, first 2 shown]
	v_add_co_u32 v58, vcc_lo, v56, s0
	s_wait_alu 0xfffd
	v_add_co_ci_u32_e32 v59, vcc_lo, s1, v57, vcc_lo
	s_clause 0x4
	global_store_b128 v[100:101], v[0:3], off
	global_store_b128 v[126:127], v[4:7], off
	;; [unrolled: 1-line block ×12, first 2 shown]
	global_load_b128 v[0:3], v255, s[8:9] offset:16896
	s_wait_loadcnt_dscnt 0x0
	v_mul_f64_e32 v[4:5], v[98:99], v[2:3]
	v_mul_f64_e32 v[2:3], v[96:97], v[2:3]
	s_delay_alu instid0(VALU_DEP_2) | instskip(NEXT) | instid1(VALU_DEP_2)
	v_fma_f64 v[4:5], v[96:97], v[0:1], v[4:5]
	v_fma_f64 v[2:3], v[0:1], v[98:99], -v[2:3]
	s_delay_alu instid0(VALU_DEP_2) | instskip(NEXT) | instid1(VALU_DEP_2)
	v_mul_f64_e32 v[0:1], s[2:3], v[4:5]
	v_mul_f64_e32 v[2:3], s[2:3], v[2:3]
	v_add_co_u32 v4, vcc_lo, v58, s0
	s_wait_alu 0xfffd
	v_add_co_ci_u32_e32 v5, vcc_lo, s1, v59, vcc_lo
	global_store_b128 v[4:5], v[0:3], off
.LBB0_23:
	s_endpgm
	.section	.rodata,"a",@progbits
	.p2align	6, 0x0
	.amdhsa_kernel bluestein_single_fwd_len1144_dim1_dp_op_CI_CI
		.amdhsa_group_segment_fixed_size 18304
		.amdhsa_private_segment_fixed_size 100
		.amdhsa_kernarg_size 104
		.amdhsa_user_sgpr_count 2
		.amdhsa_user_sgpr_dispatch_ptr 0
		.amdhsa_user_sgpr_queue_ptr 0
		.amdhsa_user_sgpr_kernarg_segment_ptr 1
		.amdhsa_user_sgpr_dispatch_id 0
		.amdhsa_user_sgpr_private_segment_size 0
		.amdhsa_wavefront_size32 1
		.amdhsa_uses_dynamic_stack 0
		.amdhsa_enable_private_segment 1
		.amdhsa_system_sgpr_workgroup_id_x 1
		.amdhsa_system_sgpr_workgroup_id_y 0
		.amdhsa_system_sgpr_workgroup_id_z 0
		.amdhsa_system_sgpr_workgroup_info 0
		.amdhsa_system_vgpr_workitem_id 0
		.amdhsa_next_free_vgpr 256
		.amdhsa_next_free_sgpr 46
		.amdhsa_reserve_vcc 1
		.amdhsa_float_round_mode_32 0
		.amdhsa_float_round_mode_16_64 0
		.amdhsa_float_denorm_mode_32 3
		.amdhsa_float_denorm_mode_16_64 3
		.amdhsa_fp16_overflow 0
		.amdhsa_workgroup_processor_mode 1
		.amdhsa_memory_ordered 1
		.amdhsa_forward_progress 0
		.amdhsa_round_robin_scheduling 0
		.amdhsa_exception_fp_ieee_invalid_op 0
		.amdhsa_exception_fp_denorm_src 0
		.amdhsa_exception_fp_ieee_div_zero 0
		.amdhsa_exception_fp_ieee_overflow 0
		.amdhsa_exception_fp_ieee_underflow 0
		.amdhsa_exception_fp_ieee_inexact 0
		.amdhsa_exception_int_div_zero 0
	.end_amdhsa_kernel
	.text
.Lfunc_end0:
	.size	bluestein_single_fwd_len1144_dim1_dp_op_CI_CI, .Lfunc_end0-bluestein_single_fwd_len1144_dim1_dp_op_CI_CI
                                        ; -- End function
	.section	.AMDGPU.csdata,"",@progbits
; Kernel info:
; codeLenInByte = 18416
; NumSgprs: 48
; NumVgprs: 256
; ScratchSize: 100
; MemoryBound: 0
; FloatMode: 240
; IeeeMode: 1
; LDSByteSize: 18304 bytes/workgroup (compile time only)
; SGPRBlocks: 5
; VGPRBlocks: 31
; NumSGPRsForWavesPerEU: 48
; NumVGPRsForWavesPerEU: 256
; Occupancy: 5
; WaveLimiterHint : 1
; COMPUTE_PGM_RSRC2:SCRATCH_EN: 1
; COMPUTE_PGM_RSRC2:USER_SGPR: 2
; COMPUTE_PGM_RSRC2:TRAP_HANDLER: 0
; COMPUTE_PGM_RSRC2:TGID_X_EN: 1
; COMPUTE_PGM_RSRC2:TGID_Y_EN: 0
; COMPUTE_PGM_RSRC2:TGID_Z_EN: 0
; COMPUTE_PGM_RSRC2:TIDIG_COMP_CNT: 0
	.text
	.p2alignl 7, 3214868480
	.fill 96, 4, 3214868480
	.type	__hip_cuid_1ac9a8e10d22502c,@object ; @__hip_cuid_1ac9a8e10d22502c
	.section	.bss,"aw",@nobits
	.globl	__hip_cuid_1ac9a8e10d22502c
__hip_cuid_1ac9a8e10d22502c:
	.byte	0                               ; 0x0
	.size	__hip_cuid_1ac9a8e10d22502c, 1

	.ident	"AMD clang version 19.0.0git (https://github.com/RadeonOpenCompute/llvm-project roc-6.4.0 25133 c7fe45cf4b819c5991fe208aaa96edf142730f1d)"
	.section	".note.GNU-stack","",@progbits
	.addrsig
	.addrsig_sym __hip_cuid_1ac9a8e10d22502c
	.amdgpu_metadata
---
amdhsa.kernels:
  - .args:
      - .actual_access:  read_only
        .address_space:  global
        .offset:         0
        .size:           8
        .value_kind:     global_buffer
      - .actual_access:  read_only
        .address_space:  global
        .offset:         8
        .size:           8
        .value_kind:     global_buffer
      - .actual_access:  read_only
        .address_space:  global
        .offset:         16
        .size:           8
        .value_kind:     global_buffer
      - .actual_access:  read_only
        .address_space:  global
        .offset:         24
        .size:           8
        .value_kind:     global_buffer
      - .actual_access:  read_only
        .address_space:  global
        .offset:         32
        .size:           8
        .value_kind:     global_buffer
      - .offset:         40
        .size:           8
        .value_kind:     by_value
      - .address_space:  global
        .offset:         48
        .size:           8
        .value_kind:     global_buffer
      - .address_space:  global
        .offset:         56
        .size:           8
        .value_kind:     global_buffer
      - .address_space:  global
        .offset:         64
        .size:           8
        .value_kind:     global_buffer
      - .address_space:  global
        .offset:         72
        .size:           8
        .value_kind:     global_buffer
      - .offset:         80
        .size:           4
        .value_kind:     by_value
      - .address_space:  global
        .offset:         88
        .size:           8
        .value_kind:     global_buffer
      - .address_space:  global
        .offset:         96
        .size:           8
        .value_kind:     global_buffer
    .group_segment_fixed_size: 18304
    .kernarg_segment_align: 8
    .kernarg_segment_size: 104
    .language:       OpenCL C
    .language_version:
      - 2
      - 0
    .max_flat_workgroup_size: 104
    .name:           bluestein_single_fwd_len1144_dim1_dp_op_CI_CI
    .private_segment_fixed_size: 100
    .sgpr_count:     48
    .sgpr_spill_count: 0
    .symbol:         bluestein_single_fwd_len1144_dim1_dp_op_CI_CI.kd
    .uniform_work_group_size: 1
    .uses_dynamic_stack: false
    .vgpr_count:     256
    .vgpr_spill_count: 24
    .wavefront_size: 32
    .workgroup_processor_mode: 1
amdhsa.target:   amdgcn-amd-amdhsa--gfx1201
amdhsa.version:
  - 1
  - 2
...

	.end_amdgpu_metadata
